;; amdgpu-corpus repo=ROCm/rocFFT kind=compiled arch=gfx906 opt=O3
	.text
	.amdgcn_target "amdgcn-amd-amdhsa--gfx906"
	.amdhsa_code_object_version 6
	.protected	bluestein_single_fwd_len1760_dim1_dp_op_CI_CI ; -- Begin function bluestein_single_fwd_len1760_dim1_dp_op_CI_CI
	.globl	bluestein_single_fwd_len1760_dim1_dp_op_CI_CI
	.p2align	8
	.type	bluestein_single_fwd_len1760_dim1_dp_op_CI_CI,@function
bluestein_single_fwd_len1760_dim1_dp_op_CI_CI: ; @bluestein_single_fwd_len1760_dim1_dp_op_CI_CI
; %bb.0:
	s_load_dwordx4 s[16:19], s[4:5], 0x28
	s_mov_b64 s[46:47], s[2:3]
	v_mul_u32_u24_e32 v1, 0x175, v0
	s_mov_b64 s[44:45], s[0:1]
	v_add_u32_sdwa v32, s6, v1 dst_sel:DWORD dst_unused:UNUSED_PAD src0_sel:DWORD src1_sel:WORD_1
	v_mov_b32_e32 v33, 0
	s_add_u32 s44, s44, s7
	s_waitcnt lgkmcnt(0)
	v_cmp_gt_u64_e32 vcc, s[16:17], v[32:33]
	s_addc_u32 s45, s45, 0
	s_and_saveexec_b64 s[0:1], vcc
	s_cbranch_execz .LBB0_10
; %bb.1:
	s_load_dwordx4 s[0:3], s[4:5], 0x18
	s_load_dwordx4 s[12:15], s[4:5], 0x0
                                        ; implicit-def: $vgpr136_vgpr137
	s_waitcnt lgkmcnt(0)
	s_load_dwordx4 s[8:11], s[0:1], 0x0
	s_movk_i32 s0, 0xb0
	v_mul_lo_u16_sdwa v1, v1, s0 dst_sel:DWORD dst_unused:UNUSED_PAD src0_sel:WORD_1 src1_sel:DWORD
	v_sub_u16_e32 v233, v0, v1
	v_lshlrev_b32_e32 v205, 4, v233
	s_waitcnt lgkmcnt(0)
	v_mad_u64_u32 v[0:1], s[6:7], s10, v32, 0
	v_mad_u64_u32 v[2:3], s[6:7], s8, v233, 0
	s_mul_i32 s1, s9, 0x3700
	v_lshlrev_b32_e32 v18, 5, v233
	v_mad_u64_u32 v[4:5], s[6:7], s11, v32, v[1:2]
	v_mad_u64_u32 v[5:6], s[6:7], s9, v233, v[3:4]
	v_mov_b32_e32 v1, v4
	v_lshlrev_b64 v[0:1], 4, v[0:1]
	v_mov_b32_e32 v6, s19
	v_mov_b32_e32 v3, v5
	v_add_co_u32_e32 v4, vcc, s18, v0
	v_addc_co_u32_e32 v5, vcc, v6, v1, vcc
	v_lshlrev_b64 v[0:1], 4, v[2:3]
	v_mov_b32_e32 v2, s13
	v_add_co_u32_e32 v0, vcc, v4, v0
	v_addc_co_u32_e32 v1, vcc, v5, v1, vcc
	v_add_co_u32_e32 v3, vcc, s12, v205
	s_mul_hi_u32 s6, s8, 0x3700
	v_addc_co_u32_e32 v2, vcc, 0, v2, vcc
	s_add_i32 s1, s6, s1
	s_mul_i32 s6, s8, 0x3700
	v_mov_b32_e32 v5, s1
	v_add_co_u32_e32 v4, vcc, s6, v0
	v_addc_co_u32_e32 v5, vcc, v1, v5, vcc
	s_movk_i32 s7, 0x3000
	global_load_dwordx4 v[40:43], v[0:1], off
	global_load_dwordx4 v[44:47], v[4:5], off
	v_add_co_u32_e32 v0, vcc, s7, v3
	s_mul_i32 s7, s9, 0xffffd400
	s_mul_hi_u32 s9, s8, 0xffffd400
	s_sub_i32 s9, s9, s8
	v_addc_co_u32_e32 v1, vcc, 0, v2, vcc
	s_add_i32 s7, s9, s7
	s_mulk_i32 s8, 0xd400
	global_load_dwordx4 v[213:216], v[0:1], off offset:1792
	v_mov_b32_e32 v0, s7
	v_add_co_u32_e32 v8, vcc, s8, v4
	global_load_dwordx4 v[14:17], v205, s[12:13]
	global_load_dwordx4 v[217:220], v205, s[12:13] offset:2816
	v_addc_co_u32_e32 v9, vcc, v5, v0, vcc
	v_mov_b32_e32 v0, s1
	v_add_co_u32_e32 v10, vcc, s6, v8
	v_addc_co_u32_e32 v11, vcc, v9, v0, vcc
	s_movk_i32 s9, 0x4000
	v_add_co_u32_e32 v20, vcc, s9, v3
	v_addc_co_u32_e32 v21, vcc, 0, v2, vcc
	v_mov_b32_e32 v0, s7
	v_add_co_u32_e32 v12, vcc, s8, v10
	v_addc_co_u32_e32 v13, vcc, v11, v0, vcc
	s_movk_i32 s9, 0x1000
	global_load_dwordx4 v[48:51], v[8:9], off
	global_load_dwordx4 v[52:55], v[10:11], off
	v_add_co_u32_e32 v8, vcc, s9, v3
	v_addc_co_u32_e32 v9, vcc, 0, v2, vcc
	v_mov_b32_e32 v0, s1
	v_add_co_u32_e32 v22, vcc, s6, v12
	v_addc_co_u32_e32 v23, vcc, v13, v0, vcc
	global_load_dwordx4 v[56:59], v[12:13], off
	global_load_dwordx4 v[221:224], v[8:9], off offset:1536
	global_load_dwordx4 v[60:63], v[22:23], off
	s_nop 0
	global_load_dwordx4 v[8:11], v[20:21], off offset:512
	global_load_dwordx4 v[225:228], v[20:21], off offset:3328
	v_mov_b32_e32 v0, s7
	v_add_co_u32_e32 v20, vcc, s8, v22
	v_addc_co_u32_e32 v21, vcc, v23, v0, vcc
	s_movk_i32 s9, 0x2000
	v_add_co_u32_e32 v28, vcc, s9, v3
	v_addc_co_u32_e32 v29, vcc, 0, v2, vcc
	v_mov_b32_e32 v0, s1
	v_add_co_u32_e32 v24, vcc, s6, v20
	v_addc_co_u32_e32 v25, vcc, v21, v0, vcc
	s_movk_i32 s9, 0x5000
	global_load_dwordx4 v[64:67], v[20:21], off
	v_add_co_u32_e32 v20, vcc, s9, v3
	v_addc_co_u32_e32 v21, vcc, 0, v2, vcc
	v_mov_b32_e32 v0, s7
	v_add_co_u32_e32 v30, vcc, s8, v24
	v_addc_co_u32_e32 v31, vcc, v25, v0, vcc
	global_load_dwordx4 v[68:71], v[24:25], off
	global_load_dwordx4 v[229:232], v[20:21], off offset:2048
	global_load_dwordx4 v[72:75], v[30:31], off
	s_nop 0
	global_load_dwordx4 v[20:23], v[28:29], off offset:256
	global_load_dwordx4 v[24:27], v[28:29], off offset:3072
	v_mov_b32_e32 v0, s1
	v_add_co_u32_e32 v28, vcc, s6, v30
	v_addc_co_u32_e32 v29, vcc, v31, v0, vcc
	s_movk_i32 s1, 0x6000
	global_load_dwordx4 v[76:79], v[28:29], off
	v_add_co_u32_e32 v28, vcc, s1, v3
	v_addc_co_u32_e32 v29, vcc, 0, v2, vcc
	global_load_dwordx4 v[28:31], v[28:29], off offset:768
	s_load_dwordx4 s[8:11], s[2:3], 0x0
	v_add_co_u32_e32 v6, vcc, s0, v233
	s_waitcnt vmcnt(17)
	v_mul_f64 v[84:85], v[46:47], v[215:216]
	v_mul_f64 v[86:87], v[44:45], v[215:216]
	v_lshlrev_b32_e32 v19, 5, v6
	s_waitcnt vmcnt(16)
	v_mul_f64 v[80:81], v[42:43], v[16:17]
	v_mul_f64 v[82:83], v[40:41], v[16:17]
	s_movk_i32 s0, 0x1fc
	s_movk_i32 s1, 0x3f0
	;; [unrolled: 1-line block ×3, first 2 shown]
	v_fma_f64 v[44:45], v[44:45], v[213:214], v[84:85]
	v_fma_f64 v[46:47], v[46:47], v[213:214], -v[86:87]
	s_movk_i32 s6, 0x7e0
	v_fma_f64 v[40:41], v[40:41], v[14:15], v[80:81]
	v_fma_f64 v[42:43], v[42:43], v[14:15], -v[82:83]
	ds_write_b128 v205, v[40:43]
	ds_write_b128 v205, v[44:47] offset:14080
	s_waitcnt vmcnt(14)
	v_mul_f64 v[40:41], v[50:51], v[219:220]
	v_mul_f64 v[42:43], v[48:49], v[219:220]
	v_fma_f64 v[40:41], v[48:49], v[217:218], v[40:41]
	v_fma_f64 v[42:43], v[50:51], v[217:218], -v[42:43]
	s_waitcnt vmcnt(11)
	v_mul_f64 v[80:81], v[58:59], v[223:224]
	v_mul_f64 v[82:83], v[56:57], v[223:224]
	s_waitcnt vmcnt(9)
	v_mul_f64 v[44:45], v[54:55], v[10:11]
	v_mul_f64 v[46:47], v[52:53], v[10:11]
	;; [unrolled: 3-line block ×3, first 2 shown]
	v_fma_f64 v[48:49], v[56:57], v[221:222], v[80:81]
	v_fma_f64 v[50:51], v[58:59], v[221:222], -v[82:83]
	v_fma_f64 v[44:45], v[52:53], v[8:9], v[44:45]
	v_fma_f64 v[46:47], v[54:55], v[8:9], -v[46:47]
	;; [unrolled: 2-line block ×3, first 2 shown]
	s_waitcnt vmcnt(3)
	v_mul_f64 v[56:57], v[66:67], v[22:23]
	v_mul_f64 v[58:59], v[64:65], v[22:23]
	;; [unrolled: 1-line block ×4, first 2 shown]
	s_waitcnt vmcnt(2)
	v_mul_f64 v[80:81], v[74:75], v[26:27]
	v_mul_f64 v[82:83], v[72:73], v[26:27]
	v_fma_f64 v[56:57], v[64:65], v[20:21], v[56:57]
	v_fma_f64 v[58:59], v[66:67], v[20:21], -v[58:59]
	v_fma_f64 v[60:61], v[68:69], v[229:230], v[60:61]
	v_fma_f64 v[62:63], v[70:71], v[229:230], -v[62:63]
	v_fma_f64 v[64:65], v[72:73], v[24:25], v[80:81]
	s_waitcnt vmcnt(0)
	v_mul_f64 v[84:85], v[78:79], v[30:31]
	v_mul_f64 v[86:87], v[76:77], v[30:31]
	v_fma_f64 v[66:67], v[74:75], v[24:25], -v[82:83]
	v_fma_f64 v[68:69], v[76:77], v[28:29], v[84:85]
	v_fma_f64 v[70:71], v[78:79], v[28:29], -v[86:87]
	ds_write_b128 v205, v[40:43] offset:2816
	ds_write_b128 v205, v[44:47] offset:16896
	;; [unrolled: 1-line block ×8, first 2 shown]
	s_waitcnt lgkmcnt(0)
	s_barrier
	ds_read_b128 v[40:43], v205 offset:14080
	ds_read_b128 v[44:47], v205
	ds_read_b128 v[48:51], v205 offset:2816
	ds_read_b128 v[52:55], v205 offset:11264
	;; [unrolled: 1-line block ×8, first 2 shown]
	v_lshlrev_b32_e32 v56, 1, v233
	s_waitcnt lgkmcnt(3)
	v_add_f64 v[61:62], v[65:66], -v[61:62]
	v_add_f64 v[40:41], v[44:45], -v[40:41]
	;; [unrolled: 1-line block ×6, first 2 shown]
	s_waitcnt lgkmcnt(1)
	v_add_f64 v[73:74], v[69:70], -v[73:74]
	v_add_f64 v[75:76], v[71:72], -v[75:76]
	s_waitcnt lgkmcnt(0)
	v_add_f64 v[77:78], v[52:53], -v[77:78]
	v_add_f64 v[79:80], v[54:55], -v[79:80]
	v_fma_f64 v[44:45], v[44:45], 2.0, -v[40:41]
	v_fma_f64 v[46:47], v[46:47], 2.0, -v[42:43]
	;; [unrolled: 1-line block ×10, first 2 shown]
	s_barrier
	ds_write_b128 v18, v[44:47]
	ds_write_b128 v18, v[40:43] offset:16
	ds_write_b128 v19, v[48:51]
	ds_write_b128 v19, v[57:60] offset:16
	v_add_u32_e32 v57, 0x2c0, v56
	v_lshlrev_b32_e32 v0, 4, v56
	v_add_u32_e32 v58, 0x420, v56
	v_add_u32_e32 v59, 0x580, v56
	v_lshlrev_b32_e32 v33, 4, v57
	ds_write_b128 v0, v[65:68] offset:11264
	ds_write_b128 v33, v[61:64] offset:16
	v_lshlrev_b32_e32 v34, 4, v58
	ds_write_b128 v0, v[69:72] offset:16896
	ds_write_b128 v34, v[73:76] offset:16
	;; [unrolled: 3-line block ×3, first 2 shown]
	v_and_b32_e32 v0, 1, v233
	v_lshlrev_b32_e32 v1, 4, v0
	s_waitcnt lgkmcnt(0)
	s_barrier
	global_load_dwordx4 v[40:43], v1, s[14:15]
	ds_read_b128 v[44:47], v205 offset:14080
	ds_read_b128 v[48:51], v205
	ds_read_b128 v[52:55], v205 offset:2816
	ds_read_b128 v[61:64], v205 offset:16896
	;; [unrolled: 1-line block ×8, first 2 shown]
	v_lshlrev_b32_e32 v60, 1, v6
	v_and_or_b32 v1, v56, s0, v0
	s_movk_i32 s0, 0x3fc
	v_lshlrev_b32_e32 v37, 4, v1
	v_and_or_b32 v1, v60, s0, v0
	s_movk_i32 s0, 0x7fc
	v_lshlrev_b32_e32 v36, 4, v1
	v_and_or_b32 v1, v57, s0, v0
	v_lshlrev_b32_e32 v38, 4, v1
	v_and_or_b32 v1, v58, s0, v0
	v_and_or_b32 v0, v59, s0, v0
	v_lshlrev_b32_e32 v156, 4, v0
	v_and_b32_e32 v0, 3, v233
	v_lshlrev_b32_e32 v39, 4, v1
	v_lshlrev_b32_e32 v1, 4, v0
	s_waitcnt vmcnt(0) lgkmcnt(0)
	s_barrier
	s_movk_i32 s0, 0x1f8
	v_mul_f64 v[89:90], v[46:47], v[42:43]
	v_mul_f64 v[91:92], v[44:45], v[42:43]
	;; [unrolled: 1-line block ×6, first 2 shown]
	v_fma_f64 v[44:45], v[44:45], v[40:41], -v[89:90]
	v_fma_f64 v[46:47], v[46:47], v[40:41], v[91:92]
	v_fma_f64 v[61:62], v[61:62], v[40:41], -v[93:94]
	v_fma_f64 v[63:64], v[63:64], v[40:41], v[95:96]
	v_mul_f64 v[89:90], v[67:68], v[42:43]
	v_mul_f64 v[91:92], v[65:66], v[42:43]
	;; [unrolled: 1-line block ×4, first 2 shown]
	v_fma_f64 v[85:86], v[85:86], v[40:41], -v[97:98]
	v_fma_f64 v[87:88], v[87:88], v[40:41], v[99:100]
	v_add_f64 v[44:45], v[48:49], -v[44:45]
	v_add_f64 v[46:47], v[50:51], -v[46:47]
	v_fma_f64 v[65:66], v[65:66], v[40:41], -v[89:90]
	v_fma_f64 v[67:68], v[67:68], v[40:41], v[91:92]
	v_fma_f64 v[81:82], v[81:82], v[40:41], -v[93:94]
	v_fma_f64 v[83:84], v[83:84], v[40:41], v[95:96]
	v_add_f64 v[61:62], v[52:53], -v[61:62]
	v_add_f64 v[63:64], v[54:55], -v[63:64]
	;; [unrolled: 1-line block ×8, first 2 shown]
	v_fma_f64 v[48:49], v[48:49], 2.0, -v[44:45]
	v_fma_f64 v[50:51], v[50:51], 2.0, -v[46:47]
	v_fma_f64 v[52:53], v[52:53], 2.0, -v[61:62]
	v_fma_f64 v[54:55], v[54:55], 2.0, -v[63:64]
	v_fma_f64 v[73:74], v[73:74], 2.0, -v[65:66]
	v_fma_f64 v[75:76], v[75:76], 2.0, -v[67:68]
	v_fma_f64 v[77:78], v[77:78], 2.0, -v[81:82]
	v_fma_f64 v[79:80], v[79:80], 2.0, -v[83:84]
	v_fma_f64 v[69:70], v[69:70], 2.0, -v[85:86]
	v_fma_f64 v[71:72], v[71:72], 2.0, -v[87:88]
	ds_write_b128 v37, v[48:51]
	ds_write_b128 v37, v[44:47] offset:32
	ds_write_b128 v36, v[52:55]
	ds_write_b128 v36, v[61:64] offset:32
	;; [unrolled: 2-line block ×5, first 2 shown]
	s_waitcnt lgkmcnt(0)
	s_barrier
	global_load_dwordx4 v[44:47], v1, s[14:15] offset:32
	ds_read_b128 v[48:51], v205 offset:14080
	ds_read_b128 v[52:55], v205
	ds_read_b128 v[61:64], v205 offset:2816
	ds_read_b128 v[65:68], v205 offset:16896
	;; [unrolled: 1-line block ×8, first 2 shown]
	v_and_or_b32 v1, v56, s0, v0
	s_movk_i32 s0, 0x3f8
	v_lshlrev_b32_e32 v207, 4, v1
	v_and_or_b32 v1, v60, s0, v0
	s_movk_i32 s0, 0x7f8
	v_lshlrev_b32_e32 v208, 4, v1
	v_and_or_b32 v1, v57, s0, v0
	v_lshlrev_b32_e32 v209, 4, v1
	v_and_or_b32 v1, v58, s0, v0
	v_and_or_b32 v0, v59, s0, v0
	v_lshlrev_b32_e32 v210, 4, v0
	v_and_b32_e32 v0, 7, v233
	v_lshlrev_b32_e32 v206, 4, v1
	v_lshlrev_b32_e32 v1, 4, v0
	s_waitcnt vmcnt(0) lgkmcnt(0)
	s_barrier
	s_movk_i32 s0, 0x1f0
	v_and_or_b32 v2, v57, s2, v0
	v_lshlrev_b32_e32 v211, 4, v2
	v_mul_f64 v[93:94], v[50:51], v[46:47]
	v_mul_f64 v[95:96], v[48:49], v[46:47]
	;; [unrolled: 1-line block ×6, first 2 shown]
	v_fma_f64 v[48:49], v[48:49], v[44:45], -v[93:94]
	v_fma_f64 v[50:51], v[50:51], v[44:45], v[95:96]
	v_fma_f64 v[65:66], v[65:66], v[44:45], -v[97:98]
	v_fma_f64 v[67:68], v[67:68], v[44:45], v[99:100]
	v_mul_f64 v[93:94], v[71:72], v[46:47]
	v_mul_f64 v[95:96], v[69:70], v[46:47]
	v_mul_f64 v[97:98], v[87:88], v[46:47]
	v_mul_f64 v[99:100], v[85:86], v[46:47]
	v_fma_f64 v[89:90], v[89:90], v[44:45], -v[101:102]
	v_fma_f64 v[91:92], v[91:92], v[44:45], v[103:104]
	v_add_f64 v[48:49], v[52:53], -v[48:49]
	v_add_f64 v[50:51], v[54:55], -v[50:51]
	v_fma_f64 v[69:70], v[69:70], v[44:45], -v[93:94]
	v_fma_f64 v[71:72], v[71:72], v[44:45], v[95:96]
	v_fma_f64 v[85:86], v[85:86], v[44:45], -v[97:98]
	v_fma_f64 v[87:88], v[87:88], v[44:45], v[99:100]
	v_add_f64 v[65:66], v[61:62], -v[65:66]
	v_add_f64 v[67:68], v[63:64], -v[67:68]
	v_add_f64 v[89:90], v[73:74], -v[89:90]
	v_add_f64 v[91:92], v[75:76], -v[91:92]
	v_add_f64 v[69:70], v[77:78], -v[69:70]
	v_add_f64 v[71:72], v[79:80], -v[71:72]
	v_add_f64 v[85:86], v[81:82], -v[85:86]
	v_add_f64 v[87:88], v[83:84], -v[87:88]
	v_fma_f64 v[52:53], v[52:53], 2.0, -v[48:49]
	v_fma_f64 v[54:55], v[54:55], 2.0, -v[50:51]
	;; [unrolled: 1-line block ×10, first 2 shown]
	ds_write_b128 v207, v[52:55]
	ds_write_b128 v207, v[48:51] offset:64
	ds_write_b128 v208, v[61:64]
	ds_write_b128 v208, v[65:68] offset:64
	;; [unrolled: 2-line block ×5, first 2 shown]
	s_waitcnt lgkmcnt(0)
	s_barrier
	global_load_dwordx4 v[48:51], v1, s[14:15] offset:96
	ds_read_b128 v[52:55], v205
	ds_read_b128 v[61:64], v205 offset:2816
	ds_read_b128 v[65:68], v205 offset:16896
	;; [unrolled: 1-line block ×9, first 2 shown]
	v_and_or_b32 v1, v56, s0, v0
	v_lshlrev_b32_e32 v212, 4, v1
	v_and_or_b32 v1, v60, s1, v0
	v_lshlrev_b32_e32 v243, 4, v1
	v_and_or_b32 v1, v58, s2, v0
	v_and_or_b32 v0, v59, s2, v0
	v_lshlrev_b32_e32 v249, 4, v0
	v_and_b32_e32 v0, 15, v233
	v_lshlrev_b32_e32 v248, 4, v1
	v_lshlrev_b32_e32 v1, 4, v0
	s_waitcnt vmcnt(0) lgkmcnt(0)
	s_barrier
	s_movk_i32 s0, 0x1e0
	s_movk_i32 s1, 0x3e0
	v_and_or_b32 v2, v60, s1, v0
	v_and_or_b32 v3, v57, s6, v0
	;; [unrolled: 1-line block ×3, first 2 shown]
	s_load_dwordx2 s[2:3], s[4:5], 0x38
	s_movk_i32 s4, 0xa0
	v_lshlrev_b32_e32 v234, 4, v3
	v_lshlrev_b32_e32 v251, 4, v4
	v_cmp_gt_u16_e32 vcc, s4, v233
	v_mul_f64 v[109:110], v[83:84], v[50:51]
	v_mul_f64 v[111:112], v[81:82], v[50:51]
	;; [unrolled: 1-line block ×10, first 2 shown]
	v_fma_f64 v[81:82], v[81:82], v[48:49], -v[109:110]
	v_fma_f64 v[83:84], v[83:84], v[48:49], v[111:112]
	v_fma_f64 v[85:86], v[85:86], v[48:49], -v[113:114]
	v_fma_f64 v[87:88], v[87:88], v[48:49], v[115:116]
	;; [unrolled: 2-line block ×5, first 2 shown]
	v_add_f64 v[81:82], v[93:94], -v[81:82]
	v_add_f64 v[83:84], v[95:96], -v[83:84]
	;; [unrolled: 1-line block ×10, first 2 shown]
	v_fma_f64 v[93:94], v[93:94], 2.0, -v[81:82]
	v_fma_f64 v[95:96], v[95:96], 2.0, -v[83:84]
	;; [unrolled: 1-line block ×10, first 2 shown]
	ds_write_b128 v212, v[65:68] offset:128
	ds_write_b128 v212, v[52:55]
	ds_write_b128 v243, v[61:64]
	ds_write_b128 v243, v[69:72] offset:128
	ds_write_b128 v211, v[89:92]
	ds_write_b128 v211, v[73:76] offset:128
	ds_write_b128 v248, v[93:96]
	ds_write_b128 v248, v[81:84] offset:128
	ds_write_b128 v249, v[77:80]
	ds_write_b128 v249, v[85:88] offset:128
	s_waitcnt lgkmcnt(0)
	s_barrier
	global_load_dwordx4 v[52:55], v1, s[14:15] offset:224
	v_and_or_b32 v1, v56, s0, v0
	v_and_or_b32 v0, v59, s6, v0
	ds_read_b128 v[56:59], v205 offset:16896
	ds_read_b128 v[60:63], v205 offset:19712
	;; [unrolled: 1-line block ×6, first 2 shown]
	ds_read_b128 v[80:83], v205
	ds_read_b128 v[84:87], v205 offset:2816
	ds_read_b128 v[88:91], v205 offset:5632
	;; [unrolled: 1-line block ×3, first 2 shown]
	v_lshlrev_b32_e32 v5, 4, v1
	v_lshlrev_b32_e32 v1, 4, v2
	;; [unrolled: 1-line block ×3, first 2 shown]
	s_waitcnt vmcnt(0) lgkmcnt(0)
	s_barrier
	v_mul_f64 v[96:97], v[66:67], v[54:55]
	v_mul_f64 v[98:99], v[64:65], v[54:55]
	;; [unrolled: 1-line block ×10, first 2 shown]
	v_fma_f64 v[64:65], v[64:65], v[52:53], -v[96:97]
	v_fma_f64 v[66:67], v[66:67], v[52:53], v[98:99]
	v_fma_f64 v[56:57], v[56:57], v[52:53], -v[100:101]
	v_fma_f64 v[58:59], v[58:59], v[52:53], v[102:103]
	v_fma_f64 v[60:61], v[60:61], v[52:53], -v[104:105]
	v_fma_f64 v[62:63], v[62:63], v[52:53], v[106:107]
	v_fma_f64 v[72:73], v[72:73], v[52:53], -v[108:109]
	v_fma_f64 v[74:75], v[74:75], v[52:53], v[110:111]
	v_fma_f64 v[76:77], v[76:77], v[52:53], -v[112:113]
	v_fma_f64 v[78:79], v[78:79], v[52:53], v[114:115]
	v_add_f64 v[100:101], v[80:81], -v[64:65]
	v_add_f64 v[102:103], v[82:83], -v[66:67]
	;; [unrolled: 1-line block ×10, first 2 shown]
	v_fma_f64 v[96:97], v[80:81], 2.0, -v[100:101]
	v_fma_f64 v[98:99], v[82:83], 2.0, -v[102:103]
	;; [unrolled: 1-line block ×10, first 2 shown]
	v_mov_b32_e32 v79, v5
	v_mov_b32_e32 v78, v1
	ds_write_b128 v5, v[100:103] offset:256
	ds_write_b128 v5, v[96:99]
	ds_write_b128 v1, v[108:111]
	ds_write_b128 v1, v[104:107] offset:256
	ds_write_b128 v234, v[116:119]
	ds_write_b128 v234, v[112:115] offset:256
	;; [unrolled: 2-line block ×4, first 2 shown]
	s_waitcnt lgkmcnt(0)
	s_barrier
	s_and_saveexec_b64 s[0:1], vcc
	s_cbranch_execz .LBB0_3
; %bb.2:
	ds_read_b128 v[96:99], v205
	ds_read_b128 v[100:103], v205 offset:2560
	ds_read_b128 v[108:111], v205 offset:5120
	;; [unrolled: 1-line block ×10, first 2 shown]
.LBB0_3:
	s_or_b64 exec, exec, s[0:1]
	v_mov_b32_e32 v57, s15
	v_and_b32_e32 v12, 31, v233
	v_mov_b32_e32 v56, s14
	v_mad_u64_u32 v[76:77], s[0:1], v12, s4, v[56:57]
	s_mov_b32 s26, 0xf8bb580b
	global_load_dwordx4 v[244:247], v[76:77], off offset:480
	global_load_dwordx4 v[60:63], v[76:77], off offset:496
	;; [unrolled: 1-line block ×10, first 2 shown]
	s_mov_b32 s27, 0xbfe14ced
	s_mov_b32 s0, 0x8764f0ba
	;; [unrolled: 1-line block ×19, first 2 shown]
	v_lshrrev_b32_e32 v13, 5, v233
	s_waitcnt vmcnt(0) lgkmcnt(0)
	s_barrier
	v_mul_f64 v[140:141], v[102:103], v[246:247]
	v_mul_f64 v[142:143], v[100:101], v[246:247]
	;; [unrolled: 1-line block ×12, first 2 shown]
	v_fma_f64 v[163:164], v[100:101], v[244:245], -v[140:141]
	v_fma_f64 v[173:174], v[102:103], v[244:245], v[142:143]
	v_mul_f64 v[177:178], v[130:131], v[82:83]
	v_mul_f64 v[179:180], v[128:129], v[82:83]
	v_fma_f64 v[152:153], v[108:109], v[60:61], -v[144:145]
	v_fma_f64 v[100:101], v[136:137], v[72:73], -v[185:186]
	v_fma_f64 v[102:103], v[138:139], v[72:73], v[187:188]
	v_fma_f64 v[154:155], v[110:111], v[60:61], v[146:147]
	v_fma_f64 v[148:149], v[104:105], v[56:57], -v[148:149]
	v_fma_f64 v[150:151], v[106:107], v[56:57], v[150:151]
	v_fma_f64 v[104:105], v[132:133], v[252:253], -v[181:182]
	v_fma_f64 v[106:107], v[134:135], v[252:253], v[183:184]
	v_mul_f64 v[159:160], v[116:117], v[66:67]
	v_add_f64 v[191:192], v[163:164], -v[100:101]
	v_add_f64 v[193:194], v[173:174], -v[102:103]
	v_mul_f64 v[161:162], v[114:115], v[94:95]
	v_mul_f64 v[165:166], v[112:113], v[94:95]
	;; [unrolled: 1-line block ×5, first 2 shown]
	v_fma_f64 v[144:145], v[116:117], v[64:65], -v[157:158]
	v_fma_f64 v[116:117], v[124:125], v[88:89], -v[167:168]
	v_fma_f64 v[108:109], v[128:129], v[80:81], -v[177:178]
	v_fma_f64 v[110:111], v[130:131], v[80:81], v[179:180]
	v_add_f64 v[124:125], v[163:164], v[100:101]
	v_add_f64 v[199:200], v[173:174], v[102:103]
	v_add_f64 v[181:182], v[152:153], -v[104:105]
	v_add_f64 v[189:190], v[154:155], -v[106:107]
	v_mul_f64 v[138:139], v[193:194], s[26:27]
	v_mul_f64 v[167:168], v[191:192], s[26:27]
	v_fma_f64 v[146:147], v[118:119], v[64:65], v[159:160]
	v_fma_f64 v[140:141], v[112:113], v[92:93], -v[161:162]
	v_fma_f64 v[142:143], v[114:115], v[92:93], v[165:166]
	v_fma_f64 v[118:119], v[126:127], v[88:89], v[169:170]
	v_fma_f64 v[112:113], v[120:121], v[84:85], -v[171:172]
	v_fma_f64 v[114:115], v[122:123], v[84:85], v[175:176]
	v_add_f64 v[126:127], v[152:153], v[104:105]
	v_add_f64 v[197:198], v[154:155], v[106:107]
	v_add_f64 v[175:176], v[148:149], -v[108:109]
	v_add_f64 v[183:184], v[150:151], -v[110:111]
	v_mul_f64 v[157:158], v[189:190], s[22:23]
	v_mul_f64 v[165:166], v[181:182], s[22:23]
	v_fma_f64 v[128:129], v[124:125], s[0:1], v[138:139]
	v_fma_f64 v[130:131], v[199:200], s[0:1], -v[167:168]
	v_add_f64 v[122:123], v[148:149], v[108:109]
	v_add_f64 v[195:196], v[150:151], v[110:111]
	v_add_f64 v[177:178], v[144:145], -v[112:113]
	v_add_f64 v[185:186], v[146:147], -v[114:115]
	v_mul_f64 v[134:135], v[183:184], s[28:29]
	v_mul_f64 v[159:160], v[175:176], s[28:29]
	v_fma_f64 v[132:133], v[126:127], s[4:5], v[157:158]
	v_fma_f64 v[169:170], v[197:198], s[4:5], -v[165:166]
	v_add_f64 v[128:129], v[96:97], v[128:129]
	v_add_f64 v[130:131], v[98:99], v[130:131]
	;; [unrolled: 1-line block ×4, first 2 shown]
	v_add_f64 v[179:180], v[140:141], -v[116:117]
	v_add_f64 v[187:188], v[142:143], -v[118:119]
	v_mul_f64 v[136:137], v[185:186], s[20:21]
	v_mul_f64 v[161:162], v[177:178], s[20:21]
	v_fma_f64 v[235:236], v[122:123], s[6:7], v[134:135]
	v_fma_f64 v[237:238], v[195:196], s[6:7], -v[159:160]
	v_add_f64 v[128:129], v[132:133], v[128:129]
	v_add_f64 v[130:131], v[169:170], v[130:131]
	;; [unrolled: 1-line block ×4, first 2 shown]
	v_mul_f64 v[169:170], v[187:188], s[24:25]
	v_mul_f64 v[171:172], v[179:180], s[24:25]
	v_fma_f64 v[239:240], v[120:121], s[16:17], v[136:137]
	v_fma_f64 v[241:242], v[201:202], s[16:17], -v[161:162]
	v_add_f64 v[128:129], v[235:236], v[128:129]
	v_add_f64 v[130:131], v[237:238], v[130:131]
	v_fma_f64 v[235:236], v[132:133], s[30:31], v[169:170]
	v_fma_f64 v[237:238], v[203:204], s[30:31], -v[171:172]
	v_add_f64 v[128:129], v[239:240], v[128:129]
	v_add_f64 v[130:131], v[241:242], v[130:131]
	;; [unrolled: 1-line block ×4, first 2 shown]
	s_and_saveexec_b64 s[18:19], vcc
	s_cbranch_execz .LBB0_5
; %bb.4:
	v_mul_f64 v[0:1], v[124:125], s[0:1]
	v_mul_f64 v[235:236], v[199:200], s[30:31]
	s_mov_b32 s37, 0x3fd207e7
	s_mov_b32 s36, s24
	v_mul_f64 v[239:240], v[197:198], s[0:1]
	s_mov_b32 s39, 0x3fe14ced
	s_mov_b32 s38, s26
	;; [unrolled: 1-line block ×3, first 2 shown]
	buffer_store_dword v0, off, s[44:47], 0 offset:116 ; 4-byte Folded Spill
	s_nop 0
	buffer_store_dword v1, off, s[44:47], 0 offset:120 ; 4-byte Folded Spill
	v_mul_f64 v[0:1], v[199:200], s[0:1]
	v_fma_f64 v[241:242], v[191:192], s[36:37], v[235:236]
	v_fma_f64 v[235:236], v[191:192], s[24:25], v[235:236]
	s_mov_b32 s40, s20
	v_mul_f64 v[237:238], v[201:202], s[4:5]
	s_mov_b32 s43, 0x3fed1bb4
	s_mov_b32 s42, s22
	s_mov_b32 s35, 0x3fefac9e
	buffer_store_dword v0, off, s[44:47], 0 offset:132 ; 4-byte Folded Spill
	s_nop 0
	buffer_store_dword v1, off, s[44:47], 0 offset:136 ; 4-byte Folded Spill
	v_mul_f64 v[0:1], v[126:127], s[4:5]
	v_add_f64 v[241:242], v[98:99], v[241:242]
	v_add_f64 v[235:236], v[98:99], v[235:236]
	s_mov_b32 s34, s28
	v_mov_b32_e32 v77, v6
	v_add_f64 v[173:174], v[98:99], v[173:174]
	v_add_f64 v[163:164], v[96:97], v[163:164]
	buffer_store_dword v0, off, s[44:47], 0 offset:108 ; 4-byte Folded Spill
	s_nop 0
	buffer_store_dword v1, off, s[44:47], 0 offset:112 ; 4-byte Folded Spill
	v_mul_f64 v[0:1], v[197:198], s[4:5]
	buffer_store_dword v0, off, s[44:47], 0 offset:124 ; 4-byte Folded Spill
	s_nop 0
	buffer_store_dword v1, off, s[44:47], 0 offset:128 ; 4-byte Folded Spill
	v_mul_f64 v[0:1], v[122:123], s[6:7]
	v_add_f64 v[154:155], v[173:174], v[154:155]
	v_add_f64 v[152:153], v[163:164], v[152:153]
	v_mul_f64 v[163:164], v[183:184], s[36:37]
	buffer_store_dword v0, off, s[44:47], 0 offset:100 ; 4-byte Folded Spill
	s_nop 0
	buffer_store_dword v1, off, s[44:47], 0 offset:104 ; 4-byte Folded Spill
	v_mul_f64 v[0:1], v[195:196], s[6:7]
	buffer_store_dword v72, off, s[44:47], 0 offset:68 ; 4-byte Folded Spill
	s_nop 0
	buffer_store_dword v73, off, s[44:47], 0 offset:72 ; 4-byte Folded Spill
	buffer_store_dword v74, off, s[44:47], 0 offset:76 ; 4-byte Folded Spill
	;; [unrolled: 1-line block ×3, first 2 shown]
	v_mov_b32_e32 v72, v67
	v_mov_b32_e32 v71, v66
	;; [unrolled: 1-line block ×6, first 2 shown]
	buffer_store_dword v0, off, s[44:47], 0 offset:156 ; 4-byte Folded Spill
	s_nop 0
	buffer_store_dword v1, off, s[44:47], 0 offset:160 ; 4-byte Folded Spill
	v_mul_f64 v[0:1], v[120:121], s[16:17]
	v_mov_b32_e32 v66, v57
	v_mov_b32_e32 v65, v56
	v_mov_b32_e32 v59, v17
	v_mov_b32_e32 v58, v16
	v_mov_b32_e32 v57, v15
	v_mov_b32_e32 v56, v14
	v_mov_b32_e32 v12, v217
	buffer_store_dword v0, off, s[44:47], 0 offset:140 ; 4-byte Folded Spill
	s_nop 0
	buffer_store_dword v1, off, s[44:47], 0 offset:144 ; 4-byte Folded Spill
	v_mul_f64 v[0:1], v[201:202], s[16:17]
	v_mov_b32_e32 v13, v218
	v_mov_b32_e32 v14, v219
	;; [unrolled: 1-line block ×6, first 2 shown]
	v_fma_f64 v[219:220], v[181:182], s[26:27], v[239:240]
	buffer_store_dword v0, off, s[44:47], 0 offset:148 ; 4-byte Folded Spill
	s_nop 0
	buffer_store_dword v1, off, s[44:47], 0 offset:152 ; 4-byte Folded Spill
	buffer_store_dword v128, off, s[44:47], 0 offset:84 ; 4-byte Folded Spill
	s_nop 0
	buffer_store_dword v129, off, s[44:47], 0 offset:88 ; 4-byte Folded Spill
	buffer_store_dword v130, off, s[44:47], 0 offset:92 ; 4-byte Folded Spill
	;; [unrolled: 1-line block ×5, first 2 shown]
	s_nop 0
	buffer_store_dword v61, off, s[44:47], 0 offset:28 ; 4-byte Folded Spill
	buffer_store_dword v62, off, s[44:47], 0 offset:32 ; 4-byte Folded Spill
	;; [unrolled: 1-line block ×4, first 2 shown]
	s_nop 0
	buffer_store_dword v245, off, s[44:47], 0 offset:44 ; 4-byte Folded Spill
	buffer_store_dword v246, off, s[44:47], 0 offset:48 ; 4-byte Folded Spill
	;; [unrolled: 1-line block ×3, first 2 shown]
	v_mul_f64 v[245:246], v[193:194], s[24:25]
	buffer_store_dword v248, off, s[44:47], 0 offset:56 ; 4-byte Folded Spill
	buffer_store_dword v249, off, s[44:47], 0 offset:60 ; 4-byte Folded Spill
	;; [unrolled: 1-line block ×4, first 2 shown]
	v_mov_b32_e32 v207, v18
	v_mov_b32_e32 v16, v221
	v_mul_f64 v[249:250], v[195:196], s[16:17]
	v_mov_b32_e32 v17, v222
	v_mov_b32_e32 v18, v223
	;; [unrolled: 1-line block ×3, first 2 shown]
	v_mul_f64 v[221:222], v[189:190], s[38:39]
	v_fma_f64 v[223:224], v[124:125], s[30:31], v[245:246]
	v_mov_b32_e32 v131, v23
	v_mov_b32_e32 v130, v22
	;; [unrolled: 1-line block ×8, first 2 shown]
	v_fma_f64 v[225:226], v[175:176], s[40:41], v[249:250]
	v_add_f64 v[219:220], v[219:220], v[241:242]
	v_mul_f64 v[241:242], v[183:184], s[20:21]
	v_fma_f64 v[227:228], v[126:127], s[0:1], v[221:222]
	v_add_f64 v[223:224], v[96:97], v[223:224]
	v_fma_f64 v[239:240], v[181:182], s[38:39], v[239:240]
	v_fma_f64 v[245:246], v[124:125], s[30:31], -v[245:246]
	buffer_store_dword v36, off, s[44:47], 0 ; 4-byte Folded Spill
	buffer_store_dword v37, off, s[44:47], 0 offset:4 ; 4-byte Folded Spill
	buffer_store_dword v38, off, s[44:47], 0 offset:8 ; 4-byte Folded Spill
	;; [unrolled: 1-line block ×3, first 2 shown]
	v_mov_b32_e32 v39, v31
	v_mov_b32_e32 v38, v30
	;; [unrolled: 1-line block ×5, first 2 shown]
	v_mul_f64 v[243:244], v[203:204], s[6:7]
	v_fma_f64 v[247:248], v[177:178], s[22:23], v[237:238]
	v_mov_b32_e32 v29, v230
	v_mov_b32_e32 v30, v231
	;; [unrolled: 1-line block ×3, first 2 shown]
	v_mul_f64 v[229:230], v[185:186], s[42:43]
	v_fma_f64 v[231:232], v[122:123], s[16:17], v[241:242]
	v_add_f64 v[223:224], v[227:228], v[223:224]
	v_fma_f64 v[227:228], v[175:176], s[20:21], v[249:250]
	v_add_f64 v[235:236], v[239:240], v[235:236]
	v_add_f64 v[219:220], v[225:226], v[219:220]
	v_fma_f64 v[221:222], v[126:127], s[0:1], -v[221:222]
	v_add_f64 v[245:246], v[96:97], v[245:246]
	v_fma_f64 v[239:240], v[120:121], s[4:5], v[229:230]
	v_fma_f64 v[241:242], v[122:123], s[16:17], -v[241:242]
	v_add_f64 v[223:224], v[231:232], v[223:224]
	v_fma_f64 v[231:232], v[177:178], s[42:43], v[237:238]
	v_add_f64 v[227:228], v[227:228], v[235:236]
	v_fma_f64 v[235:236], v[179:180], s[34:35], v[243:244]
	v_add_f64 v[219:220], v[247:248], v[219:220]
	v_add_f64 v[221:222], v[221:222], v[245:246]
	v_mul_f64 v[0:1], v[132:133], s[30:31]
	v_mul_f64 v[225:226], v[187:188], s[28:29]
	v_add_f64 v[223:224], v[239:240], v[223:224]
	v_fma_f64 v[239:240], v[179:180], s[28:29], v[243:244]
	v_add_f64 v[227:228], v[231:232], v[227:228]
	buffer_store_dword v0, off, s[44:47], 0 offset:164 ; 4-byte Folded Spill
	s_nop 0
	buffer_store_dword v1, off, s[44:47], 0 offset:168 ; 4-byte Folded Spill
	v_add_f64 v[237:238], v[235:236], v[219:220]
	v_fma_f64 v[219:220], v[120:121], s[4:5], -v[229:230]
	v_add_f64 v[221:222], v[241:242], v[221:222]
	v_mul_f64 v[229:230], v[199:200], s[16:17]
	v_add_f64 v[241:242], v[239:240], v[227:228]
	v_mul_f64 v[227:228], v[193:194], s[20:21]
	v_mul_f64 v[239:240], v[197:198], s[6:7]
	v_fma_f64 v[247:248], v[132:133], s[6:7], v[225:226]
	v_mul_f64 v[243:244], v[195:196], s[0:1]
	v_mul_f64 v[249:250], v[189:190], s[34:35]
	v_add_f64 v[219:220], v[219:220], v[221:222]
	v_fma_f64 v[221:222], v[191:192], s[40:41], v[229:230]
	v_fma_f64 v[229:230], v[191:192], s[20:21], v[229:230]
	;; [unrolled: 1-line block ×4, first 2 shown]
	v_mov_b32_e32 v60, v32
	v_mov_b32_e32 v62, v33
	v_mov_b32_e32 v63, v34
	v_mov_b32_e32 v61, v35
	v_add_f64 v[221:222], v[98:99], v[221:222]
	v_mov_b32_e32 v35, v27
	v_mov_b32_e32 v34, v26
	;; [unrolled: 1-line block ×10, first 2 shown]
	v_add_f64 v[235:236], v[247:248], v[223:224]
	v_mul_f64 v[223:224], v[201:202], s[30:31]
	v_mov_b32_e32 v217, v206
	v_mov_b32_e32 v206, v209
	v_mov_b32_e32 v74, v253
	v_mov_b32_e32 v75, v254
	v_mov_b32_e32 v76, v255
	v_mov_b32_e32 v255, v210
	v_fma_f64 v[209:210], v[175:176], s[38:39], v[243:244]
	v_mov_b32_e32 v64, v234
	v_mov_b32_e32 v234, v233
	;; [unrolled: 1-line block ×3, first 2 shown]
	v_mul_f64 v[251:252], v[183:184], s[26:27]
	v_fma_f64 v[227:228], v[124:125], s[16:17], -v[227:228]
	v_mov_b32_e32 v9, v214
	v_mov_b32_e32 v10, v215
	v_mov_b32_e32 v11, v216
	v_fma_f64 v[215:216], v[126:127], s[6:7], v[249:250]
	v_add_f64 v[0:1], v[96:97], v[0:1]
	v_fma_f64 v[239:240], v[181:182], s[34:35], v[239:240]
	v_add_f64 v[229:230], v[98:99], v[229:230]
	v_add_f64 v[2:3], v[2:3], v[221:222]
	v_mul_f64 v[245:246], v[203:204], s[4:5]
	v_fma_f64 v[247:248], v[177:178], s[36:37], v[223:224]
	v_mul_f64 v[221:222], v[185:186], s[24:25]
	v_fma_f64 v[249:250], v[126:127], s[6:7], -v[249:250]
	v_add_f64 v[227:228], v[96:97], v[227:228]
	v_mov_b32_e32 v254, v211
	v_mov_b32_e32 v253, v212
	v_fma_f64 v[211:212], v[122:123], s[0:1], v[251:252]
	v_add_f64 v[0:1], v[215:216], v[0:1]
	v_fma_f64 v[213:214], v[175:176], s[26:27], v[243:244]
	v_add_f64 v[215:216], v[239:240], v[229:230]
	v_add_f64 v[2:3], v[209:210], v[2:3]
	v_mul_f64 v[209:210], v[187:188], s[42:43]
	v_fma_f64 v[229:230], v[122:123], s[0:1], -v[251:252]
	v_add_f64 v[227:228], v[249:250], v[227:228]
	v_fma_f64 v[239:240], v[120:121], s[30:31], v[221:222]
	v_add_f64 v[0:1], v[211:212], v[0:1]
	v_fma_f64 v[211:212], v[177:178], s[24:25], v[223:224]
	;; [unrolled: 2-line block ×3, first 2 shown]
	v_add_f64 v[2:3], v[247:248], v[2:3]
	v_fma_f64 v[225:226], v[132:133], s[6:7], -v[225:226]
	v_fma_f64 v[221:222], v[120:121], s[30:31], -v[221:222]
	v_add_f64 v[223:224], v[229:230], v[227:228]
	v_fma_f64 v[227:228], v[132:133], s[4:5], v[209:210]
	v_add_f64 v[0:1], v[239:240], v[0:1]
	v_fma_f64 v[229:230], v[179:180], s[42:43], v[245:246]
	v_add_f64 v[211:212], v[211:212], v[213:214]
	v_mul_f64 v[213:214], v[199:200], s[6:7]
	v_add_f64 v[245:246], v[215:216], v[2:3]
	v_mul_f64 v[2:3], v[193:194], s[28:29]
	v_add_f64 v[239:240], v[225:226], v[219:220]
	v_fma_f64 v[209:210], v[132:133], s[4:5], -v[209:210]
	v_add_f64 v[219:220], v[221:222], v[223:224]
	v_add_f64 v[243:244], v[227:228], v[0:1]
	v_mul_f64 v[0:1], v[197:198], s[30:31]
	v_add_f64 v[249:250], v[229:230], v[211:212]
	v_fma_f64 v[211:212], v[191:192], s[34:35], v[213:214]
	v_mul_f64 v[223:224], v[189:190], s[36:37]
	v_fma_f64 v[225:226], v[124:125], s[6:7], v[2:3]
	v_fma_f64 v[213:214], v[191:192], s[28:29], v[213:214]
	v_add_f64 v[247:248], v[209:210], v[219:220]
	v_mul_f64 v[209:210], v[195:196], s[4:5]
	v_fma_f64 v[221:222], v[181:182], s[24:25], v[0:1]
	v_fma_f64 v[2:3], v[124:125], s[6:7], -v[2:3]
	v_add_f64 v[211:212], v[98:99], v[211:212]
	v_mul_f64 v[251:252], v[183:184], s[42:43]
	v_fma_f64 v[4:5], v[126:127], s[30:31], v[223:224]
	v_add_f64 v[6:7], v[96:97], v[225:226]
	v_mul_f64 v[215:216], v[201:202], s[0:1]
	v_fma_f64 v[229:230], v[175:176], s[22:23], v[209:210]
	v_fma_f64 v[0:1], v[181:182], s[36:37], v[0:1]
	v_add_f64 v[213:214], v[98:99], v[213:214]
	v_add_f64 v[211:212], v[221:222], v[211:212]
	v_fma_f64 v[221:222], v[126:127], s[30:31], -v[223:224]
	v_add_f64 v[2:3], v[96:97], v[2:3]
	v_mul_f64 v[223:224], v[185:186], s[26:27]
	v_fma_f64 v[225:226], v[122:123], s[4:5], v[251:252]
	v_add_f64 v[4:5], v[4:5], v[6:7]
	v_mul_f64 v[219:220], v[203:204], s[16:17]
	v_fma_f64 v[227:228], v[177:178], s[38:39], v[215:216]
	v_add_f64 v[6:7], v[229:230], v[211:212]
	v_add_f64 v[0:1], v[0:1], v[213:214]
	v_fma_f64 v[211:212], v[122:123], s[4:5], -v[251:252]
	v_add_f64 v[2:3], v[221:222], v[2:3]
	v_mul_f64 v[213:214], v[187:188], s[20:21]
	v_fma_f64 v[221:222], v[120:121], s[0:1], v[223:224]
	v_add_f64 v[4:5], v[225:226], v[4:5]
	v_fma_f64 v[209:210], v[175:176], s[42:43], v[209:210]
	v_fma_f64 v[225:226], v[179:180], s[40:41], v[219:220]
	v_add_f64 v[6:7], v[227:228], v[6:7]
	v_fma_f64 v[215:216], v[177:178], s[26:27], v[215:216]
	v_add_f64 v[2:3], v[211:212], v[2:3]
	v_fma_f64 v[211:212], v[132:133], s[16:17], v[213:214]
	v_fma_f64 v[213:214], v[132:133], s[16:17], -v[213:214]
	v_add_f64 v[4:5], v[221:222], v[4:5]
	v_mul_f64 v[221:222], v[199:200], s[4:5]
	v_add_f64 v[0:1], v[209:210], v[0:1]
	v_fma_f64 v[209:210], v[120:121], s[0:1], -v[223:224]
	v_add_f64 v[199:200], v[225:226], v[6:7]
	v_mul_f64 v[6:7], v[197:198], s[16:17]
	v_add_f64 v[150:151], v[154:155], v[150:151]
	v_add_f64 v[148:149], v[152:153], v[148:149]
	;; [unrolled: 1-line block ×3, first 2 shown]
	v_fma_f64 v[4:5], v[191:192], s[42:43], v[221:222]
	v_fma_f64 v[191:192], v[191:192], s[22:23], v[221:222]
	v_mov_b32_e32 v224, v19
	v_mov_b32_e32 v223, v18
	;; [unrolled: 1-line block ×5, first 2 shown]
	buffer_load_dword v207, off, s[44:47], 0 offset:16 ; 4-byte Folded Reload
	buffer_load_dword v16, off, s[44:47], 0 offset:132 ; 4-byte Folded Reload
	;; [unrolled: 1-line block ×3, first 2 shown]
	v_add_f64 v[2:3], v[209:210], v[2:3]
	v_mul_f64 v[211:212], v[201:202], s[6:7]
	v_add_f64 v[0:1], v[215:216], v[0:1]
	v_add_f64 v[144:145], v[148:149], v[144:145]
	v_fma_f64 v[219:220], v[179:180], s[20:21], v[219:220]
	v_mul_f64 v[193:194], v[193:194], s[22:23]
	v_mul_f64 v[231:232], v[203:204], s[30:31]
	;; [unrolled: 1-line block ×3, first 2 shown]
	v_add_f64 v[201:202], v[213:214], v[2:3]
	v_mul_f64 v[2:3], v[195:196], s[30:31]
	v_fma_f64 v[195:196], v[181:182], s[40:41], v[6:7]
	v_fma_f64 v[6:7], v[181:182], s[20:21], v[6:7]
	v_add_f64 v[181:182], v[98:99], v[191:192]
	v_add_f64 v[140:141], v[144:145], v[140:141]
	;; [unrolled: 1-line block ×3, first 2 shown]
	v_mul_f64 v[189:190], v[189:190], s[20:21]
	v_fma_f64 v[219:220], v[124:125], s[4:5], v[193:194]
	v_fma_f64 v[215:216], v[175:176], s[24:25], v[2:3]
	;; [unrolled: 1-line block ×3, first 2 shown]
	v_add_f64 v[4:5], v[98:99], v[4:5]
	v_add_f64 v[6:7], v[6:7], v[181:182]
	v_fma_f64 v[154:155], v[122:123], s[30:31], v[163:164]
	v_fma_f64 v[213:214], v[177:178], s[28:29], v[211:212]
	;; [unrolled: 1-line block ×3, first 2 shown]
	v_add_f64 v[183:184], v[96:97], v[219:220]
	v_fma_f64 v[124:125], v[124:125], s[4:5], -v[193:194]
	v_fma_f64 v[0:1], v[179:180], s[26:27], v[209:210]
	v_add_f64 v[4:5], v[195:196], v[4:5]
	v_add_f64 v[2:3], v[2:3], v[6:7]
	;; [unrolled: 1-line block ×3, first 2 shown]
	v_mov_b32_e32 v19, v156
	v_mov_b32_e32 v156, v208
	v_add_f64 v[173:174], v[173:174], v[183:184]
	v_mov_b32_e32 v208, v218
	v_mov_b32_e32 v251, v233
	v_add_f64 v[4:5], v[215:216], v[4:5]
	v_mov_b32_e32 v233, v234
	v_add_f64 v[6:7], v[6:7], v[142:143]
	v_mov_b32_e32 v234, v64
	v_fma_f64 v[175:176], v[177:178], s[34:35], v[211:212]
	v_add_f64 v[150:151], v[154:155], v[173:174]
	v_fma_f64 v[154:155], v[179:180], s[38:39], v[209:210]
	v_mov_b32_e32 v209, v206
	v_mov_b32_e32 v206, v217
	;; [unrolled: 1-line block ×3, first 2 shown]
	v_add_f64 v[4:5], v[213:214], v[4:5]
	v_mov_b32_e32 v216, v11
	v_add_f64 v[6:7], v[6:7], v[118:119]
	v_mov_b32_e32 v219, v14
	v_mov_b32_e32 v218, v13
	;; [unrolled: 1-line block ×23, first 2 shown]
	v_add_f64 v[6:7], v[6:7], v[114:115]
	v_mul_f64 v[152:153], v[185:186], s[34:35]
	v_add_f64 v[116:117], v[140:141], v[116:117]
	v_fma_f64 v[126:127], v[126:127], s[16:17], -v[189:190]
	v_fma_f64 v[122:123], v[122:123], s[30:31], -v[163:164]
	v_mul_f64 v[146:147], v[187:188], s[38:39]
	v_add_f64 v[2:3], v[175:176], v[2:3]
	v_lshrrev_b32_e32 v13, 5, v233
	s_waitcnt vmcnt(0)
	v_add_f64 v[167:168], v[167:168], v[16:17]
	buffer_load_dword v16, off, s[44:47], 0 offset:116 ; 4-byte Folded Reload
	buffer_load_dword v17, off, s[44:47], 0 offset:120 ; 4-byte Folded Reload
	v_fma_f64 v[148:149], v[120:121], s[6:7], v[152:153]
	v_add_f64 v[112:113], v[116:117], v[112:113]
	v_fma_f64 v[116:117], v[120:121], s[6:7], -v[152:153]
	v_add_f64 v[6:7], v[6:7], v[110:111]
	v_and_b32_e32 v12, 31, v233
	v_mov_b32_e32 v228, v23
	v_add_f64 v[98:99], v[98:99], v[167:168]
	v_mov_b32_e32 v227, v22
	v_mov_b32_e32 v226, v21
	v_add_f64 v[108:109], v[112:113], v[108:109]
	v_fma_f64 v[112:113], v[132:133], s[0:1], -v[146:147]
	v_add_f64 v[6:7], v[6:7], v[106:107]
	v_mov_b32_e32 v225, v20
	v_mov_b32_e32 v20, v128
	;; [unrolled: 1-line block ×5, first 2 shown]
	v_add_f64 v[106:107], v[108:109], v[104:105]
	v_mov_b32_e32 v34, v63
	v_add_f64 v[108:109], v[6:7], v[102:103]
	v_mov_b32_e32 v33, v62
	v_mov_b32_e32 v6, v77
	v_add_f64 v[106:107], v[106:107], v[100:101]
	s_waitcnt vmcnt(0)
	v_add_f64 v[138:139], v[16:17], -v[138:139]
	buffer_load_dword v16, off, s[44:47], 0 offset:124 ; 4-byte Folded Reload
	buffer_load_dword v17, off, s[44:47], 0 offset:128 ; 4-byte Folded Reload
	v_add_f64 v[118:119], v[96:97], v[138:139]
	v_add_f64 v[96:97], v[96:97], v[124:125]
	;; [unrolled: 1-line block ×5, first 2 shown]
	v_fma_f64 v[116:117], v[132:133], s[0:1], v[146:147]
	v_add_f64 v[96:97], v[112:113], v[96:97]
	v_add_f64 v[112:113], v[0:1], v[4:5]
	v_mul_u32_u24_e32 v0, 0x160, v13
	v_or_b32_e32 v0, v0, v12
	v_lshlrev_b32_e32 v0, 4, v0
	s_waitcnt vmcnt(0)
	v_add_f64 v[142:143], v[165:166], v[16:17]
	buffer_load_dword v16, off, s[44:47], 0 offset:108 ; 4-byte Folded Reload
	buffer_load_dword v17, off, s[44:47], 0 offset:112 ; 4-byte Folded Reload
	v_add_f64 v[98:99], v[142:143], v[98:99]
	s_waitcnt vmcnt(0)
	v_add_f64 v[144:145], v[16:17], -v[157:158]
	buffer_load_dword v16, off, s[44:47], 0 offset:156 ; 4-byte Folded Reload
	buffer_load_dword v17, off, s[44:47], 0 offset:160 ; 4-byte Folded Reload
	v_add_f64 v[114:115], v[144:145], v[118:119]
	s_waitcnt vmcnt(0)
	v_add_f64 v[124:125], v[159:160], v[16:17]
	v_mov_b32_e32 v14, v56
	v_mov_b32_e32 v15, v57
	;; [unrolled: 1-line block ×12, first 2 shown]
	buffer_load_dword v72, off, s[44:47], 0 offset:68 ; 4-byte Folded Reload
	buffer_load_dword v73, off, s[44:47], 0 offset:72 ; 4-byte Folded Reload
	;; [unrolled: 1-line block ×6, first 2 shown]
	v_add_f64 v[98:99], v[124:125], v[98:99]
	s_waitcnt vmcnt(0)
	v_add_f64 v[134:135], v[60:61], -v[134:135]
	buffer_load_dword v60, off, s[44:47], 0 offset:148 ; 4-byte Folded Reload
	buffer_load_dword v61, off, s[44:47], 0 offset:152 ; 4-byte Folded Reload
	v_add_f64 v[110:111], v[134:135], v[114:115]
	v_add_f64 v[114:115], v[171:172], v[231:232]
	v_mov_b32_e32 v232, v31
	v_mov_b32_e32 v231, v30
	;; [unrolled: 1-line block ×8, first 2 shown]
	s_waitcnt vmcnt(0)
	v_add_f64 v[118:119], v[161:162], v[60:61]
	buffer_load_dword v60, off, s[44:47], 0 offset:140 ; 4-byte Folded Reload
	buffer_load_dword v61, off, s[44:47], 0 offset:144 ; 4-byte Folded Reload
	v_add_f64 v[118:119], v[118:119], v[98:99]
	v_add_f64 v[98:99], v[154:155], v[2:3]
	;; [unrolled: 1-line block ×3, first 2 shown]
	s_waitcnt vmcnt(0)
	v_add_f64 v[120:121], v[60:61], -v[136:137]
	buffer_load_dword v60, off, s[44:47], 0 offset:164 ; 4-byte Folded Reload
	buffer_load_dword v61, off, s[44:47], 0 offset:168 ; 4-byte Folded Reload
	;; [unrolled: 1-line block ×5, first 2 shown]
	buffer_load_dword v36, off, s[44:47], 0 ; 4-byte Folded Reload
	v_add_f64 v[110:111], v[120:121], v[110:111]
	v_add_f64 v[120:121], v[148:149], v[150:151]
	s_waitcnt vmcnt(4)
	v_add_f64 v[122:123], v[60:61], -v[169:170]
	v_add_f64 v[102:103], v[122:123], v[110:111]
	ds_write_b128 v0, v[106:109]
	ds_write_b128 v0, v[102:105] offset:512
	ds_write_b128 v0, v[96:99] offset:1024
	;; [unrolled: 1-line block ×4, first 2 shown]
	buffer_load_dword v250, off, s[44:47], 0 offset:64 ; 4-byte Folded Reload
	buffer_load_dword v249, off, s[44:47], 0 offset:60 ; 4-byte Folded Reload
	;; [unrolled: 1-line block ×3, first 2 shown]
	ds_write_b128 v0, v[239:242] offset:2560
	buffer_load_dword v128, off, s[44:47], 0 offset:84 ; 4-byte Folded Reload
	buffer_load_dword v129, off, s[44:47], 0 offset:88 ; 4-byte Folded Reload
	;; [unrolled: 1-line block ×4, first 2 shown]
	ds_write_b128 v0, v[235:238] offset:3072
	ds_write_b128 v0, v[243:246] offset:3584
	buffer_load_dword v244, off, s[44:47], 0 offset:40 ; 4-byte Folded Reload
	buffer_load_dword v245, off, s[44:47], 0 offset:44 ; 4-byte Folded Reload
	;; [unrolled: 1-line block ×9, first 2 shown]
	v_add_f64 v[110:111], v[116:117], v[120:121]
	ds_write_b128 v0, v[197:200] offset:4096
	ds_write_b128 v0, v[110:113] offset:4608
	s_waitcnt vmcnt(9)
	ds_write_b128 v0, v[128:131] offset:5120
.LBB0_5:
	s_or_b64 exec, exec, s[18:19]
	v_lshlrev_b32_e32 v0, 6, v233
	v_mov_b32_e32 v4, s15
	v_add_co_u32_e64 v2, s[0:1], s14, v0
	v_addc_co_u32_e64 v3, s[0:1], 0, v4, s[0:1]
	s_movk_i32 s4, 0x15e0
	v_add_co_u32_e64 v0, s[0:1], s4, v2
	v_addc_co_u32_e64 v1, s[0:1], 0, v3, s[0:1]
	s_movk_i32 s5, 0x1000
	v_add_co_u32_e64 v2, s[0:1], s5, v2
	v_addc_co_u32_e64 v3, s[0:1], 0, v3, s[0:1]
	s_waitcnt vmcnt(0) lgkmcnt(0)
	s_barrier
	global_load_dwordx4 v[104:107], v[2:3], off offset:1504
	global_load_dwordx4 v[96:99], v[0:1], off offset:48
	;; [unrolled: 1-line block ×4, first 2 shown]
	v_lshlrev_b32_e32 v0, 6, v6
	v_add_co_u32_e64 v2, s[0:1], s14, v0
	v_addc_co_u32_e64 v3, s[0:1], 0, v4, s[0:1]
	v_add_co_u32_e64 v0, s[0:1], s5, v2
	v_addc_co_u32_e64 v1, s[0:1], 0, v3, s[0:1]
	global_load_dwordx4 v[116:119], v[0:1], off offset:1504
	v_add_co_u32_e64 v0, s[0:1], s4, v2
	v_addc_co_u32_e64 v1, s[0:1], 0, v3, s[0:1]
	global_load_dwordx4 v[124:127], v[0:1], off offset:16
	global_load_dwordx4 v[120:123], v[0:1], off offset:32
	;; [unrolled: 1-line block ×3, first 2 shown]
	ds_read_b128 v[134:137], v205
	ds_read_b128 v[138:141], v205 offset:2816
	ds_read_b128 v[142:145], v205 offset:5632
	;; [unrolled: 1-line block ×9, first 2 shown]
	v_lshlrev_b32_e32 v0, 4, v233
	v_mov_b32_e32 v1, s13
	v_add_co_u32_e64 v132, s[0:1], s12, v0
	v_addc_co_u32_e64 v133, s[0:1], 0, v1, s[0:1]
	s_mov_b32 s14, 0x134454ff
	s_mov_b32 s15, 0x3fee6f0e
	s_mov_b32 s17, 0xbfee6f0e
	s_mov_b32 s16, s14
	s_mov_b32 s4, 0x4755a5e
	s_mov_b32 s5, 0x3fe2cf23
	s_mov_b32 s13, 0xbfe2cf23
	s_mov_b32 s12, s4
	s_mov_b32 s6, 0x372fe950
	s_mov_b32 s7, 0x3fd3c6ef
	s_movk_i32 s0, 0x6000
	s_waitcnt vmcnt(7) lgkmcnt(7)
	v_mul_f64 v[0:1], v[144:145], v[106:107]
	v_mul_f64 v[2:3], v[142:143], v[106:107]
	s_waitcnt vmcnt(5) lgkmcnt(3)
	v_mul_f64 v[154:155], v[163:164], v[110:111]
	s_waitcnt vmcnt(4)
	v_mul_f64 v[4:5], v[152:153], v[114:115]
	s_waitcnt lgkmcnt(1)
	v_mul_f64 v[179:180], v[171:172], v[98:99]
	v_mul_f64 v[6:7], v[150:151], v[114:115]
	;; [unrolled: 1-line block ×4, first 2 shown]
	v_fma_f64 v[0:1], v[142:143], v[104:105], -v[0:1]
	v_fma_f64 v[2:3], v[144:145], v[104:105], v[2:3]
	v_fma_f64 v[144:145], v[161:162], v[108:109], -v[154:155]
	v_fma_f64 v[4:5], v[150:151], v[112:113], -v[4:5]
	;; [unrolled: 1-line block ×3, first 2 shown]
	s_waitcnt vmcnt(3)
	v_mul_f64 v[183:184], v[148:149], v[118:119]
	v_mul_f64 v[185:186], v[146:147], v[118:119]
	v_fma_f64 v[6:7], v[152:153], v[112:113], v[6:7]
	s_waitcnt vmcnt(2)
	v_mul_f64 v[187:188], v[159:160], v[126:127]
	v_mul_f64 v[189:190], v[157:158], v[126:127]
	v_fma_f64 v[152:153], v[163:164], v[108:109], v[177:178]
	v_fma_f64 v[154:155], v[171:172], v[96:97], v[181:182]
	s_waitcnt vmcnt(1)
	v_mul_f64 v[191:192], v[167:168], v[122:123]
	v_fma_f64 v[163:164], v[146:147], v[116:117], -v[183:184]
	v_fma_f64 v[169:170], v[148:149], v[116:117], v[185:186]
	v_add_f64 v[146:147], v[4:5], v[144:145]
	v_fma_f64 v[171:172], v[157:158], v[124:125], -v[187:188]
	v_add_f64 v[148:149], v[134:135], v[0:1]
	v_add_f64 v[157:158], v[0:1], v[142:143]
	v_fma_f64 v[177:178], v[159:160], v[124:125], v[189:190]
	v_add_f64 v[150:151], v[2:3], -v[154:155]
	v_add_f64 v[159:160], v[6:7], -v[152:153]
	;; [unrolled: 1-line block ×4, first 2 shown]
	v_fma_f64 v[146:147], v[146:147], -0.5, v[134:135]
	v_add_f64 v[148:149], v[148:149], v[4:5]
	v_fma_f64 v[134:135], v[157:158], -0.5, v[134:135]
	v_add_f64 v[157:158], v[6:7], v[152:153]
	v_add_f64 v[185:186], v[136:137], v[2:3]
	v_mul_f64 v[193:194], v[165:166], v[122:123]
	v_fma_f64 v[165:166], v[165:166], v[120:121], -v[191:192]
	v_add_f64 v[181:182], v[4:5], -v[0:1]
	v_add_f64 v[183:184], v[144:145], -v[142:143]
	v_fma_f64 v[189:190], v[150:151], s[14:15], v[146:147]
	v_fma_f64 v[146:147], v[150:151], s[16:17], v[146:147]
	v_add_f64 v[161:162], v[161:162], v[179:180]
	v_fma_f64 v[179:180], v[159:160], s[16:17], v[134:135]
	v_fma_f64 v[191:192], v[157:158], -0.5, v[136:137]
	v_add_f64 v[148:149], v[148:149], v[144:145]
	v_fma_f64 v[157:158], v[159:160], s[14:15], v[134:135]
	s_waitcnt vmcnt(0) lgkmcnt(0)
	v_mul_f64 v[197:198], v[173:174], v[102:103]
	v_add_f64 v[0:1], v[0:1], -v[142:143]
	v_add_f64 v[185:186], v[185:186], v[6:7]
	v_add_f64 v[187:188], v[2:3], v[154:155]
	v_fma_f64 v[189:190], v[159:160], s[4:5], v[189:190]
	v_fma_f64 v[146:147], v[159:160], s[12:13], v[146:147]
	v_add_f64 v[159:160], v[181:182], v[183:184]
	v_fma_f64 v[179:180], v[150:151], s[4:5], v[179:180]
	v_add_f64 v[134:135], v[148:149], v[142:143]
	v_fma_f64 v[148:149], v[150:151], s[12:13], v[157:158]
	v_mul_f64 v[195:196], v[175:176], v[102:103]
	v_fma_f64 v[175:176], v[175:176], v[100:101], v[197:198]
	v_add_f64 v[181:182], v[185:186], v[152:153]
	v_fma_f64 v[183:184], v[0:1], s[16:17], v[191:192]
	v_add_f64 v[4:5], v[4:5], -v[144:145]
	v_add_f64 v[144:145], v[171:172], v[165:166]
	v_fma_f64 v[142:143], v[161:162], s[6:7], v[189:190]
	v_fma_f64 v[146:147], v[161:162], s[6:7], v[146:147]
	;; [unrolled: 1-line block ×3, first 2 shown]
	v_add_f64 v[161:162], v[2:3], -v[6:7]
	v_add_f64 v[179:180], v[154:155], -v[152:153]
	v_fma_f64 v[157:158], v[159:160], s[6:7], v[148:149]
	v_fma_f64 v[148:149], v[187:188], -0.5, v[136:137]
	v_fma_f64 v[167:168], v[167:168], v[120:121], v[193:194]
	v_fma_f64 v[173:174], v[173:174], v[100:101], -v[195:196]
	v_add_f64 v[136:137], v[181:182], v[154:155]
	v_fma_f64 v[159:160], v[4:5], s[12:13], v[183:184]
	v_add_f64 v[181:182], v[138:139], v[163:164]
	v_fma_f64 v[183:184], v[144:145], -0.5, v[138:139]
	v_add_f64 v[185:186], v[169:170], -v[175:176]
	v_add_f64 v[161:162], v[161:162], v[179:180]
	v_fma_f64 v[179:180], v[4:5], s[14:15], v[148:149]
	v_add_f64 v[2:3], v[6:7], -v[2:3]
	v_add_f64 v[6:7], v[152:153], -v[154:155]
	v_fma_f64 v[148:149], v[4:5], s[16:17], v[148:149]
	v_fma_f64 v[144:145], v[0:1], s[14:15], v[191:192]
	v_add_f64 v[152:153], v[181:182], v[171:172]
	v_fma_f64 v[154:155], v[185:186], s[14:15], v[183:184]
	v_add_f64 v[181:182], v[177:178], -v[167:168]
	v_add_f64 v[187:188], v[163:164], -v[171:172]
	v_add_f64 v[189:190], v[173:174], -v[165:166]
	v_fma_f64 v[179:180], v[0:1], s[12:13], v[179:180]
	v_add_f64 v[2:3], v[2:3], v[6:7]
	v_fma_f64 v[0:1], v[0:1], s[4:5], v[148:149]
	v_fma_f64 v[4:5], v[4:5], s[4:5], v[144:145]
	v_add_f64 v[191:192], v[163:164], v[173:174]
	v_fma_f64 v[154:155], v[181:182], s[4:5], v[154:155]
	v_add_f64 v[6:7], v[152:153], v[165:166]
	v_add_f64 v[187:188], v[187:188], v[189:190]
	v_fma_f64 v[144:145], v[161:162], s[6:7], v[159:160]
	v_fma_f64 v[152:153], v[2:3], s[6:7], v[179:180]
	;; [unrolled: 1-line block ×3, first 2 shown]
	v_add_f64 v[0:1], v[177:178], v[167:168]
	v_fma_f64 v[148:149], v[161:162], s[6:7], v[4:5]
	v_fma_f64 v[189:190], v[191:192], -0.5, v[138:139]
	v_add_f64 v[138:139], v[6:7], v[173:174]
	v_fma_f64 v[161:162], v[187:188], s[6:7], v[154:155]
	v_add_f64 v[154:155], v[169:170], v[175:176]
	v_fma_f64 v[2:3], v[185:186], s[16:17], v[183:184]
	v_add_f64 v[6:7], v[171:172], -v[163:164]
	v_add_f64 v[179:180], v[165:166], -v[173:174]
	v_add_f64 v[183:184], v[140:141], v[169:170]
	v_fma_f64 v[0:1], v[0:1], -0.5, v[140:141]
	v_add_f64 v[163:164], v[163:164], -v[173:174]
	v_add_f64 v[165:166], v[171:172], -v[165:166]
	v_fma_f64 v[140:141], v[154:155], -0.5, v[140:141]
	v_fma_f64 v[4:5], v[181:182], s[16:17], v[189:190]
	v_fma_f64 v[2:3], v[181:182], s[12:13], v[2:3]
	v_add_f64 v[6:7], v[6:7], v[179:180]
	v_fma_f64 v[154:155], v[181:182], s[14:15], v[189:190]
	v_add_f64 v[171:172], v[183:184], v[177:178]
	v_fma_f64 v[173:174], v[163:164], s[16:17], v[0:1]
	v_add_f64 v[179:180], v[169:170], -v[177:178]
	v_add_f64 v[181:182], v[175:176], -v[167:168]
	v_fma_f64 v[0:1], v[163:164], s[14:15], v[0:1]
	v_fma_f64 v[183:184], v[165:166], s[14:15], v[140:141]
	v_add_f64 v[169:170], v[177:178], -v[169:170]
	v_add_f64 v[177:178], v[167:168], -v[175:176]
	v_fma_f64 v[140:141], v[165:166], s[16:17], v[140:141]
	v_add_f64 v[167:168], v[171:172], v[167:168]
	v_fma_f64 v[171:172], v[165:166], s[12:13], v[173:174]
	v_add_f64 v[179:180], v[179:180], v[181:182]
	v_fma_f64 v[0:1], v[165:166], s[4:5], v[0:1]
	v_fma_f64 v[4:5], v[185:186], s[4:5], v[4:5]
	;; [unrolled: 1-line block ×3, first 2 shown]
	v_add_f64 v[177:178], v[169:170], v[177:178]
	v_fma_f64 v[154:155], v[185:186], s[12:13], v[154:155]
	v_fma_f64 v[183:184], v[163:164], s[4:5], v[140:141]
	v_add_f64 v[140:141], v[167:168], v[175:176]
	v_fma_f64 v[163:164], v[179:180], s[6:7], v[171:172]
	v_fma_f64 v[167:168], v[179:180], s[6:7], v[0:1]
	v_add_co_u32_e64 v0, s[0:1], s0, v132
	v_addc_co_u32_e64 v1, s[0:1], 0, v133, s[0:1]
	v_fma_f64 v[169:170], v[6:7], s[6:7], v[4:5]
	v_fma_f64 v[171:172], v[177:178], s[6:7], v[181:182]
	s_mov_b32 s0, 0xa000
	v_fma_f64 v[165:166], v[187:188], s[6:7], v[2:3]
	v_fma_f64 v[173:174], v[6:7], s[6:7], v[154:155]
	v_fma_f64 v[175:176], v[177:178], s[6:7], v[183:184]
	ds_write_b128 v205, v[134:137]
	ds_write_b128 v205, v[142:145] offset:5632
	ds_write_b128 v205, v[150:153] offset:11264
	;; [unrolled: 1-line block ×9, first 2 shown]
	s_waitcnt lgkmcnt(0)
	s_barrier
	global_load_dwordx4 v[134:137], v[0:1], off offset:3584
	v_add_co_u32_e64 v0, s[0:1], s0, v132
	v_addc_co_u32_e64 v1, s[0:1], 0, v133, s[0:1]
	global_load_dwordx4 v[138:141], v[0:1], off offset:1280
	s_movk_i32 s0, 0x6e00
	v_add_co_u32_e64 v0, s[0:1], s0, v132
	v_addc_co_u32_e64 v1, s[0:1], 0, v133, s[0:1]
	s_mov_b32 s0, 0xb000
	global_load_dwordx4 v[142:145], v[0:1], off offset:2816
	v_add_co_u32_e64 v0, s[0:1], s0, v132
	v_addc_co_u32_e64 v1, s[0:1], 0, v133, s[0:1]
	s_mov_b32 s0, 0x8000
	v_add_co_u32_e64 v2, s[0:1], s0, v132
	global_load_dwordx4 v[146:149], v[0:1], off
	v_addc_co_u32_e64 v3, s[0:1], 0, v133, s[0:1]
	global_load_dwordx4 v[150:153], v[2:3], off offset:1024
	global_load_dwordx4 v[157:160], v[0:1], off offset:2816
	s_mov_b32 s0, 0xc000
	v_add_co_u32_e64 v0, s[0:1], s0, v132
	v_addc_co_u32_e64 v1, s[0:1], 0, v133, s[0:1]
	s_mov_b32 s0, 0x9000
	global_load_dwordx4 v[161:164], v[2:3], off offset:3840
	global_load_dwordx4 v[165:168], v[0:1], off offset:1536
	v_add_co_u32_e64 v0, s[0:1], s0, v132
	v_addc_co_u32_e64 v1, s[0:1], 0, v133, s[0:1]
	s_mov_b32 s0, 0xd000
	global_load_dwordx4 v[169:172], v[0:1], off offset:2560
	v_add_co_u32_e64 v0, s[0:1], s0, v132
	v_addc_co_u32_e64 v1, s[0:1], 0, v133, s[0:1]
	global_load_dwordx4 v[173:176], v[0:1], off offset:256
	ds_read_b128 v[177:180], v205
	ds_read_b128 v[181:184], v205 offset:14080
	ds_read_b128 v[185:188], v205 offset:2816
	;; [unrolled: 1-line block ×3, first 2 shown]
	s_waitcnt vmcnt(9) lgkmcnt(3)
	v_mul_f64 v[0:1], v[179:180], v[136:137]
	v_mul_f64 v[2:3], v[177:178], v[136:137]
	s_waitcnt vmcnt(8) lgkmcnt(2)
	v_mul_f64 v[4:5], v[183:184], v[140:141]
	v_mul_f64 v[6:7], v[181:182], v[140:141]
	v_fma_f64 v[132:133], v[177:178], v[134:135], -v[0:1]
	v_fma_f64 v[134:135], v[179:180], v[134:135], v[2:3]
	s_waitcnt vmcnt(7) lgkmcnt(1)
	v_mul_f64 v[0:1], v[187:188], v[144:145]
	v_fma_f64 v[136:137], v[181:182], v[138:139], -v[4:5]
	v_fma_f64 v[138:139], v[183:184], v[138:139], v[6:7]
	ds_write_b128 v205, v[132:135]
	ds_write_b128 v205, v[136:139] offset:14080
	ds_read_b128 v[132:135], v205 offset:16896
	ds_read_b128 v[136:139], v205 offset:5632
	;; [unrolled: 1-line block ×3, first 2 shown]
	v_mul_f64 v[2:3], v[185:186], v[144:145]
	v_fma_f64 v[140:141], v[185:186], v[142:143], -v[0:1]
	ds_read_b128 v[181:184], v205 offset:8448
	s_waitcnt vmcnt(6) lgkmcnt(3)
	v_mul_f64 v[4:5], v[134:135], v[148:149]
	v_mul_f64 v[6:7], v[132:133], v[148:149]
	s_waitcnt vmcnt(5) lgkmcnt(2)
	v_mul_f64 v[144:145], v[138:139], v[152:153]
	v_mul_f64 v[148:149], v[136:137], v[152:153]
	;; [unrolled: 3-line block ×3, first 2 shown]
	v_fma_f64 v[142:143], v[187:188], v[142:143], v[2:3]
	v_fma_f64 v[132:133], v[132:133], v[146:147], -v[4:5]
	v_fma_f64 v[134:135], v[134:135], v[146:147], v[6:7]
	v_fma_f64 v[136:137], v[136:137], v[150:151], -v[144:145]
	v_fma_f64 v[138:139], v[138:139], v[150:151], v[148:149]
	ds_read_b128 v[148:151], v205 offset:22528
	v_fma_f64 v[144:145], v[177:178], v[157:158], -v[152:153]
	ds_read_b128 v[152:155], v205 offset:25344
	v_fma_f64 v[146:147], v[179:180], v[157:158], v[0:1]
	s_waitcnt vmcnt(3) lgkmcnt(2)
	v_mul_f64 v[0:1], v[183:184], v[163:164]
	v_mul_f64 v[2:3], v[181:182], v[163:164]
	s_waitcnt vmcnt(2) lgkmcnt(1)
	v_mul_f64 v[4:5], v[150:151], v[167:168]
	v_mul_f64 v[6:7], v[148:149], v[167:168]
	s_waitcnt vmcnt(1)
	v_mul_f64 v[163:164], v[191:192], v[171:172]
	v_mul_f64 v[167:168], v[189:190], v[171:172]
	s_waitcnt vmcnt(0) lgkmcnt(0)
	v_mul_f64 v[171:172], v[154:155], v[175:176]
	v_mul_f64 v[175:176], v[152:153], v[175:176]
	v_fma_f64 v[157:158], v[181:182], v[161:162], -v[0:1]
	v_fma_f64 v[159:160], v[183:184], v[161:162], v[2:3]
	v_fma_f64 v[148:149], v[148:149], v[165:166], -v[4:5]
	v_fma_f64 v[150:151], v[150:151], v[165:166], v[6:7]
	;; [unrolled: 2-line block ×4, first 2 shown]
	ds_write_b128 v205, v[140:143] offset:2816
	ds_write_b128 v205, v[132:135] offset:16896
	ds_write_b128 v205, v[136:139] offset:5632
	ds_write_b128 v205, v[144:147] offset:19712
	ds_write_b128 v205, v[157:160] offset:8448
	ds_write_b128 v205, v[148:151] offset:22528
	ds_write_b128 v205, v[161:164] offset:11264
	ds_write_b128 v205, v[152:155] offset:25344
	s_waitcnt lgkmcnt(0)
	s_barrier
	ds_read_b128 v[132:135], v205 offset:14080
	ds_read_b128 v[136:139], v205
	ds_read_b128 v[140:143], v205 offset:2816
	ds_read_b128 v[144:147], v205 offset:11264
	;; [unrolled: 1-line block ×8, first 2 shown]
	s_waitcnt lgkmcnt(0)
	v_add_f64 v[132:133], v[136:137], -v[132:133]
	v_add_f64 v[134:135], v[138:139], -v[134:135]
	;; [unrolled: 1-line block ×10, first 2 shown]
	v_fma_f64 v[136:137], v[136:137], 2.0, -v[132:133]
	v_fma_f64 v[138:139], v[138:139], 2.0, -v[134:135]
	;; [unrolled: 1-line block ×10, first 2 shown]
	s_barrier
	ds_write_b128 v18, v[136:139]
	ds_write_b128 v18, v[132:135] offset:16
	ds_write_b128 v19, v[140:143]
	ds_write_b128 v19, v[148:151] offset:16
	ds_write_b128 v33, v[157:160]
	ds_write_b128 v33, v[152:155] offset:16
	ds_write_b128 v34, v[161:164]
	ds_write_b128 v34, v[165:168] offset:16
	ds_write_b128 v35, v[144:147]
	ds_write_b128 v35, v[169:172] offset:16
	s_waitcnt lgkmcnt(0)
	s_barrier
	ds_read_b128 v[132:135], v205 offset:14080
	ds_read_b128 v[136:139], v205
	ds_read_b128 v[140:143], v205 offset:2816
	ds_read_b128 v[144:147], v205 offset:16896
	;; [unrolled: 1-line block ×4, first 2 shown]
	s_waitcnt lgkmcnt(5)
	v_mul_f64 v[0:1], v[42:43], v[134:135]
	v_mul_f64 v[2:3], v[42:43], v[132:133]
	s_waitcnt lgkmcnt(2)
	v_mul_f64 v[4:5], v[42:43], v[146:147]
	v_mul_f64 v[6:7], v[42:43], v[144:145]
	ds_read_b128 v[157:160], v205 offset:5632
	ds_read_b128 v[161:164], v205 offset:8448
	;; [unrolled: 1-line block ×4, first 2 shown]
	s_waitcnt lgkmcnt(0)
	s_barrier
	v_fma_f64 v[0:1], v[40:41], v[132:133], v[0:1]
	v_fma_f64 v[2:3], v[40:41], v[134:135], -v[2:3]
	v_fma_f64 v[4:5], v[40:41], v[144:145], v[4:5]
	v_fma_f64 v[6:7], v[40:41], v[146:147], -v[6:7]
	v_mul_f64 v[144:145], v[42:43], v[150:151]
	v_mul_f64 v[146:147], v[42:43], v[148:149]
	;; [unrolled: 1-line block ×6, first 2 shown]
	v_add_f64 v[132:133], v[136:137], -v[0:1]
	v_add_f64 v[134:135], v[138:139], -v[2:3]
	v_fma_f64 v[0:1], v[40:41], v[148:149], v[144:145]
	v_fma_f64 v[2:3], v[40:41], v[150:151], -v[146:147]
	v_fma_f64 v[148:149], v[40:41], v[165:166], v[173:174]
	v_fma_f64 v[150:151], v[40:41], v[167:168], -v[175:176]
	;; [unrolled: 2-line block ×3, first 2 shown]
	v_fma_f64 v[40:41], v[136:137], 2.0, -v[132:133]
	v_fma_f64 v[42:43], v[138:139], 2.0, -v[134:135]
	v_add_f64 v[136:137], v[140:141], -v[4:5]
	v_add_f64 v[138:139], v[142:143], -v[6:7]
	;; [unrolled: 1-line block ×8, first 2 shown]
	v_fma_f64 v[140:141], v[140:141], 2.0, -v[136:137]
	v_fma_f64 v[142:143], v[142:143], 2.0, -v[138:139]
	;; [unrolled: 1-line block ×8, first 2 shown]
	ds_write_b128 v37, v[40:43]
	ds_write_b128 v37, v[132:135] offset:32
	ds_write_b128 v36, v[140:143]
	ds_write_b128 v36, v[136:139] offset:32
	;; [unrolled: 2-line block ×5, first 2 shown]
	s_waitcnt lgkmcnt(0)
	s_barrier
	ds_read_b128 v[40:43], v205 offset:14080
	ds_read_b128 v[132:135], v205
	ds_read_b128 v[136:139], v205 offset:2816
	ds_read_b128 v[140:143], v205 offset:16896
	;; [unrolled: 1-line block ×4, first 2 shown]
	s_waitcnt lgkmcnt(5)
	v_mul_f64 v[0:1], v[46:47], v[42:43]
	v_mul_f64 v[2:3], v[46:47], v[40:41]
	s_waitcnt lgkmcnt(2)
	v_mul_f64 v[4:5], v[46:47], v[142:143]
	v_mul_f64 v[6:7], v[46:47], v[140:141]
	ds_read_b128 v[152:155], v205 offset:5632
	ds_read_b128 v[157:160], v205 offset:8448
	;; [unrolled: 1-line block ×4, first 2 shown]
	s_waitcnt lgkmcnt(0)
	s_barrier
	v_fma_f64 v[0:1], v[44:45], v[40:41], v[0:1]
	v_fma_f64 v[2:3], v[44:45], v[42:43], -v[2:3]
	v_fma_f64 v[4:5], v[44:45], v[140:141], v[4:5]
	v_fma_f64 v[6:7], v[44:45], v[142:143], -v[6:7]
	v_mul_f64 v[140:141], v[46:47], v[146:147]
	v_mul_f64 v[142:143], v[46:47], v[144:145]
	;; [unrolled: 1-line block ×6, first 2 shown]
	v_add_f64 v[40:41], v[132:133], -v[0:1]
	v_add_f64 v[42:43], v[134:135], -v[2:3]
	v_fma_f64 v[0:1], v[44:45], v[144:145], v[140:141]
	v_fma_f64 v[2:3], v[44:45], v[146:147], -v[142:143]
	v_fma_f64 v[144:145], v[44:45], v[161:162], v[169:170]
	v_fma_f64 v[146:147], v[44:45], v[163:164], -v[171:172]
	;; [unrolled: 2-line block ×3, first 2 shown]
	v_fma_f64 v[44:45], v[132:133], 2.0, -v[40:41]
	v_fma_f64 v[46:47], v[134:135], 2.0, -v[42:43]
	v_add_f64 v[132:133], v[136:137], -v[4:5]
	v_add_f64 v[134:135], v[138:139], -v[6:7]
	;; [unrolled: 1-line block ×8, first 2 shown]
	v_fma_f64 v[136:137], v[136:137], 2.0, -v[132:133]
	v_fma_f64 v[138:139], v[138:139], 2.0, -v[134:135]
	;; [unrolled: 1-line block ×8, first 2 shown]
	ds_write_b128 v207, v[44:47]
	ds_write_b128 v207, v[40:43] offset:64
	ds_write_b128 v208, v[136:139]
	ds_write_b128 v208, v[132:135] offset:64
	;; [unrolled: 2-line block ×5, first 2 shown]
	s_waitcnt lgkmcnt(0)
	s_barrier
	ds_read_b128 v[40:43], v205 offset:14080
	ds_read_b128 v[44:47], v205
	ds_read_b128 v[132:135], v205 offset:2816
	ds_read_b128 v[136:139], v205 offset:16896
	;; [unrolled: 1-line block ×4, first 2 shown]
	s_waitcnt lgkmcnt(5)
	v_mul_f64 v[0:1], v[50:51], v[42:43]
	v_mul_f64 v[2:3], v[50:51], v[40:41]
	s_waitcnt lgkmcnt(2)
	v_mul_f64 v[4:5], v[50:51], v[138:139]
	v_mul_f64 v[6:7], v[50:51], v[136:137]
	ds_read_b128 v[148:151], v205 offset:5632
	ds_read_b128 v[152:155], v205 offset:8448
	;; [unrolled: 1-line block ×4, first 2 shown]
	s_waitcnt lgkmcnt(0)
	s_barrier
	v_fma_f64 v[0:1], v[48:49], v[40:41], v[0:1]
	v_fma_f64 v[2:3], v[48:49], v[42:43], -v[2:3]
	v_fma_f64 v[4:5], v[48:49], v[136:137], v[4:5]
	v_fma_f64 v[6:7], v[48:49], v[138:139], -v[6:7]
	v_mul_f64 v[136:137], v[50:51], v[142:143]
	v_mul_f64 v[138:139], v[50:51], v[140:141]
	;; [unrolled: 1-line block ×6, first 2 shown]
	v_add_f64 v[40:41], v[44:45], -v[0:1]
	v_add_f64 v[42:43], v[46:47], -v[2:3]
	v_fma_f64 v[0:1], v[48:49], v[140:141], v[136:137]
	v_fma_f64 v[2:3], v[48:49], v[142:143], -v[138:139]
	v_fma_f64 v[140:141], v[48:49], v[157:158], v[165:166]
	v_fma_f64 v[142:143], v[48:49], v[159:160], -v[167:168]
	;; [unrolled: 2-line block ×3, first 2 shown]
	v_add_f64 v[48:49], v[132:133], -v[4:5]
	v_add_f64 v[50:51], v[134:135], -v[6:7]
	;; [unrolled: 1-line block ×6, first 2 shown]
	v_fma_f64 v[44:45], v[44:45], 2.0, -v[40:41]
	v_fma_f64 v[46:47], v[46:47], 2.0, -v[42:43]
	v_add_f64 v[157:158], v[144:145], -v[157:158]
	v_add_f64 v[159:160], v[146:147], -v[159:160]
	v_fma_f64 v[132:133], v[132:133], 2.0, -v[48:49]
	v_fma_f64 v[134:135], v[134:135], 2.0, -v[50:51]
	;; [unrolled: 1-line block ×8, first 2 shown]
	ds_write_b128 v212, v[44:47]
	ds_write_b128 v212, v[40:43] offset:128
	ds_write_b128 v243, v[132:135]
	ds_write_b128 v243, v[48:51] offset:128
	;; [unrolled: 2-line block ×5, first 2 shown]
	s_waitcnt lgkmcnt(0)
	s_barrier
	ds_read_b128 v[40:43], v205 offset:14080
	ds_read_b128 v[48:51], v205
	ds_read_b128 v[140:143], v205 offset:2816
	ds_read_b128 v[44:47], v205 offset:16896
	;; [unrolled: 1-line block ×4, first 2 shown]
	s_waitcnt lgkmcnt(5)
	v_mul_f64 v[0:1], v[54:55], v[42:43]
	v_mul_f64 v[2:3], v[54:55], v[40:41]
	ds_read_b128 v[152:155], v205 offset:5632
	ds_read_b128 v[157:160], v205 offset:8448
	;; [unrolled: 1-line block ×4, first 2 shown]
	s_waitcnt lgkmcnt(6)
	v_mul_f64 v[4:5], v[54:55], v[46:47]
	v_mul_f64 v[6:7], v[54:55], v[44:45]
	s_waitcnt lgkmcnt(0)
	v_mul_f64 v[161:162], v[54:55], v[138:139]
	v_mul_f64 v[163:164], v[54:55], v[136:137]
	v_fma_f64 v[0:1], v[52:53], v[40:41], v[0:1]
	v_fma_f64 v[2:3], v[52:53], v[42:43], -v[2:3]
	v_mul_f64 v[40:41], v[54:55], v[134:135]
	v_mul_f64 v[42:43], v[54:55], v[132:133]
	;; [unrolled: 1-line block ×4, first 2 shown]
	v_fma_f64 v[4:5], v[52:53], v[44:45], v[4:5]
	v_fma_f64 v[6:7], v[52:53], v[46:47], -v[6:7]
	v_add_f64 v[44:45], v[48:49], -v[0:1]
	v_add_f64 v[46:47], v[50:51], -v[2:3]
	v_fma_f64 v[0:1], v[52:53], v[132:133], v[40:41]
	v_fma_f64 v[2:3], v[52:53], v[134:135], -v[42:43]
	v_fma_f64 v[132:133], v[52:53], v[136:137], v[161:162]
	v_fma_f64 v[134:135], v[52:53], v[138:139], -v[163:164]
	;; [unrolled: 2-line block ×3, first 2 shown]
	v_add_f64 v[52:53], v[140:141], -v[4:5]
	v_add_f64 v[54:55], v[142:143], -v[6:7]
	;; [unrolled: 1-line block ×8, first 2 shown]
	v_fma_f64 v[40:41], v[48:49], 2.0, -v[44:45]
	v_fma_f64 v[42:43], v[50:51], 2.0, -v[46:47]
	;; [unrolled: 1-line block ×10, first 2 shown]
	s_barrier
	ds_write_b128 v79, v[40:43]
	ds_write_b128 v79, v[44:47] offset:256
	ds_write_b128 v78, v[48:51]
	ds_write_b128 v78, v[52:55] offset:256
	;; [unrolled: 2-line block ×5, first 2 shown]
	s_waitcnt lgkmcnt(0)
	s_barrier
	s_and_saveexec_b64 s[0:1], vcc
	s_cbranch_execz .LBB0_7
; %bb.6:
	ds_read_b128 v[40:43], v205
	ds_read_b128 v[44:47], v205 offset:2560
	ds_read_b128 v[48:51], v205 offset:5120
	;; [unrolled: 1-line block ×10, first 2 shown]
.LBB0_7:
	s_or_b64 exec, exec, s[0:1]
	s_waitcnt lgkmcnt(0)
	s_barrier
	s_and_saveexec_b64 s[0:1], vcc
	s_cbranch_execz .LBB0_9
; %bb.8:
	v_mul_f64 v[2:3], v[90:91], v[154:155]
	v_mul_f64 v[0:1], v[94:95], v[138:139]
	;; [unrolled: 1-line block ×7, first 2 shown]
	s_mov_b32 s20, 0xfd768dbf
	v_fma_f64 v[70:71], v[88:89], v[152:153], v[2:3]
	v_mul_f64 v[2:3], v[58:59], v[54:55]
	v_fma_f64 v[90:91], v[92:93], v[136:137], v[0:1]
	v_mul_f64 v[0:1], v[86:87], v[144:145]
	v_mul_f64 v[152:153], v[82:83], v[150:151]
	v_fma_f64 v[94:95], v[92:93], v[138:139], -v[4:5]
	v_fma_f64 v[138:139], v[64:65], v[142:143], -v[161:162]
	v_mul_f64 v[4:5], v[82:83], v[148:149]
	v_fma_f64 v[86:87], v[84:85], v[144:145], v[159:160]
	v_fma_f64 v[142:143], v[56:57], v[52:53], v[2:3]
	v_mul_f64 v[2:3], v[58:59], v[52:53]
	v_fma_f64 v[92:93], v[88:89], v[154:155], -v[6:7]
	v_fma_f64 v[88:89], v[84:85], v[146:147], -v[0:1]
	v_fma_f64 v[84:85], v[80:81], v[148:149], v[152:153]
	v_mul_f64 v[152:153], v[74:75], v[130:131]
	v_fma_f64 v[136:137], v[64:65], v[140:141], v[157:158]
	s_mov_b32 s21, 0xbfd207e7
	s_mov_b32 s26, 0xf8bb580b
	v_fma_f64 v[66:67], v[56:57], v[54:55], -v[2:3]
	v_fma_f64 v[54:55], v[80:81], v[150:151], -v[4:5]
	v_mul_f64 v[2:3], v[62:63], v[50:51]
	v_mul_f64 v[4:5], v[254:255], v[134:135]
	;; [unrolled: 1-line block ×3, first 2 shown]
	s_mov_b32 s18, 0x9bcd5057
	s_mov_b32 s27, 0x3fe14ced
	;; [unrolled: 1-line block ×3, first 2 shown]
	v_add_f64 v[82:83], v[142:143], -v[84:85]
	s_mov_b32 s14, 0xbb3a28a1
	v_fma_f64 v[146:147], v[60:61], v[48:49], v[2:3]
	v_fma_f64 v[64:65], v[252:253], v[132:133], v[4:5]
	v_mul_f64 v[2:3], v[246:247], v[44:45]
	v_mul_f64 v[4:5], v[74:75], v[128:129]
	v_fma_f64 v[58:59], v[244:245], v[44:45], v[150:151]
	v_fma_f64 v[44:45], v[72:73], v[128:129], v[152:153]
	v_mul_f64 v[48:49], v[62:63], v[48:49]
	v_mul_f64 v[62:63], v[254:255], v[132:133]
	s_mov_b32 s22, 0x8764f0ba
	v_add_f64 v[157:158], v[146:147], -v[64:65]
	v_fma_f64 v[2:3], v[244:245], v[46:47], -v[2:3]
	v_fma_f64 v[46:47], v[72:73], v[130:131], -v[4:5]
	s_mov_b32 s15, 0xbfe82f19
	v_add_f64 v[159:160], v[58:59], -v[44:45]
	v_fma_f64 v[50:51], v[60:61], v[50:51], -v[48:49]
	v_fma_f64 v[48:49], v[252:253], v[134:135], -v[62:63]
	v_add_f64 v[167:168], v[58:59], v[44:45]
	v_mul_f64 v[62:63], v[157:158], s[26:27]
	s_mov_b32 s23, 0x3feaeb8c
	v_add_f64 v[56:57], v[2:3], -v[46:47]
	v_add_f64 v[161:162], v[2:3], v[46:47]
	v_mul_f64 v[60:61], v[159:160], s[20:21]
	v_add_f64 v[144:145], v[136:137], -v[86:87]
	v_add_f64 v[163:164], v[50:51], v[48:49]
	v_add_f64 v[165:166], v[50:51], -v[48:49]
	v_mul_f64 v[148:149], v[82:83], s[14:15]
	v_add_f64 v[80:81], v[66:67], v[54:55]
	v_mul_f64 v[72:73], v[56:57], s[20:21]
	v_add_f64 v[171:172], v[146:147], v[64:65]
	v_fma_f64 v[74:75], v[161:162], s[18:19], v[60:61]
	v_fma_f64 v[60:61], v[161:162], s[18:19], -v[60:61]
	v_fma_f64 v[128:129], v[163:164], s[22:23], v[62:63]
	v_mul_f64 v[76:77], v[165:166], s[26:27]
	s_mov_b32 s16, 0x7f775887
	s_mov_b32 s7, 0x3fed1bb4
	v_fma_f64 v[78:79], v[167:168], s[18:19], -v[72:73]
	s_mov_b32 s6, 0x8eee2c13
	v_add_f64 v[74:75], v[42:43], v[74:75]
	s_mov_b32 s17, 0xbfe4f49e
	v_mul_f64 v[6:7], v[144:145], s[6:7]
	v_add_f64 v[52:53], v[138:139], v[88:89]
	v_fma_f64 v[4:5], v[80:81], s[16:17], v[148:149]
	v_add_f64 v[169:170], v[66:67], -v[54:55]
	v_fma_f64 v[132:133], v[171:172], s[22:23], -v[76:77]
	v_add_f64 v[78:79], v[40:41], v[78:79]
	v_fma_f64 v[62:63], v[163:164], s[22:23], -v[62:63]
	v_add_f64 v[60:61], v[42:43], v[60:61]
	v_add_f64 v[74:75], v[128:129], v[74:75]
	s_mov_b32 s12, 0xd9c712b6
	s_mov_b32 s13, 0x3fda9628
	v_add_f64 v[173:174], v[138:139], -v[88:89]
	v_add_f64 v[175:176], v[142:143], v[84:85]
	v_mul_f64 v[130:131], v[169:170], s[14:15]
	v_add_f64 v[78:79], v[132:133], v[78:79]
	v_fma_f64 v[132:133], v[80:81], s[16:17], -v[148:149]
	v_add_f64 v[60:61], v[62:63], v[60:61]
	v_fma_f64 v[62:63], v[52:53], s[12:13], v[6:7]
	v_add_f64 v[4:5], v[4:5], v[74:75]
	v_add_f64 v[179:180], v[136:137], v[86:87]
	v_mul_f64 v[128:129], v[173:174], s[6:7]
	v_fma_f64 v[134:135], v[175:176], s[16:17], -v[130:131]
	v_fma_f64 v[6:7], v[52:53], s[12:13], -v[6:7]
	s_mov_b32 s4, 0x43842ef
	v_add_f64 v[60:61], v[132:133], v[60:61]
	s_mov_b32 s5, 0xbfefac9e
	v_add_f64 v[4:5], v[62:63], v[4:5]
	v_fma_f64 v[62:63], v[167:168], s[18:19], v[72:73]
	v_fma_f64 v[72:73], v[175:176], s[16:17], v[130:131]
	v_mul_f64 v[130:131], v[56:57], s[14:15]
	s_mov_b32 s31, 0x3fefac9e
	s_mov_b32 s30, s4
	v_fma_f64 v[148:149], v[179:180], s[12:13], -v[128:129]
	v_add_f64 v[78:79], v[134:135], v[78:79]
	v_add_f64 v[6:7], v[6:7], v[60:61]
	v_mul_f64 v[60:61], v[159:160], s[14:15]
	v_mul_f64 v[152:153], v[165:166], s[30:31]
	v_fma_f64 v[154:155], v[167:168], s[16:17], -v[130:131]
	s_mov_b32 s24, 0x640f44db
	s_mov_b32 s25, 0xbfc2375f
	;; [unrolled: 1-line block ×4, first 2 shown]
	v_add_f64 v[140:141], v[90:91], -v[70:71]
	v_add_f64 v[177:178], v[94:95], -v[92:93]
	v_add_f64 v[78:79], v[148:149], v[78:79]
	v_fma_f64 v[76:77], v[171:172], s[22:23], v[76:77]
	v_mul_f64 v[148:149], v[157:158], s[30:31]
	v_fma_f64 v[150:151], v[161:162], s[16:17], v[60:61]
	v_add_f64 v[62:63], v[40:41], v[62:63]
	v_mul_f64 v[187:188], v[169:170], s[28:29]
	v_fma_f64 v[189:190], v[171:172], s[24:25], -v[152:153]
	v_add_f64 v[154:155], v[40:41], v[154:155]
	v_mul_f64 v[0:1], v[140:141], s[4:5]
	v_add_f64 v[68:69], v[94:95], v[92:93]
	v_add_f64 v[181:182], v[90:91], v[70:71]
	v_mul_f64 v[74:75], v[177:178], s[4:5]
	v_mul_f64 v[183:184], v[82:83], s[28:29]
	v_fma_f64 v[185:186], v[163:164], s[24:25], v[148:149]
	v_add_f64 v[150:151], v[42:43], v[150:151]
	v_add_f64 v[62:63], v[76:77], v[62:63]
	v_fma_f64 v[193:194], v[175:176], s[22:23], -v[187:188]
	v_add_f64 v[154:155], v[189:190], v[154:155]
	v_fma_f64 v[60:61], v[161:162], s[16:17], -v[60:61]
	v_fma_f64 v[132:133], v[68:69], s[24:25], v[0:1]
	v_fma_f64 v[134:135], v[181:182], s[24:25], -v[74:75]
	v_fma_f64 v[0:1], v[68:69], s[24:25], -v[0:1]
	v_fma_f64 v[76:77], v[179:180], s[12:13], v[128:129]
	v_mul_f64 v[128:129], v[144:145], s[20:21]
	v_fma_f64 v[191:192], v[80:81], s[22:23], v[183:184]
	v_add_f64 v[150:151], v[185:186], v[150:151]
	v_mul_f64 v[185:186], v[173:174], s[20:21]
	v_add_f64 v[62:63], v[72:73], v[62:63]
	v_add_f64 v[154:155], v[193:194], v[154:155]
	v_fma_f64 v[193:194], v[181:182], s[24:25], v[74:75]
	v_fma_f64 v[74:75], v[163:164], s[24:25], -v[148:149]
	v_add_f64 v[148:149], v[42:43], v[60:61]
	v_mul_f64 v[189:190], v[140:141], s[6:7]
	v_fma_f64 v[72:73], v[52:53], s[18:19], v[128:129]
	v_add_f64 v[150:151], v[191:192], v[150:151]
	v_mul_f64 v[191:192], v[177:178], s[6:7]
	v_fma_f64 v[195:196], v[179:180], s[18:19], -v[185:186]
	v_add_f64 v[76:77], v[76:77], v[62:63]
	v_add_f64 v[62:63], v[132:133], v[4:5]
	v_fma_f64 v[4:5], v[80:81], s[22:23], -v[183:184]
	v_add_f64 v[132:133], v[74:75], v[148:149]
	v_add_f64 v[74:75], v[0:1], v[6:7]
	v_mul_f64 v[0:1], v[159:160], s[4:5]
	v_fma_f64 v[6:7], v[167:168], s[16:17], v[130:131]
	s_mov_b32 s35, 0x3fd207e7
	s_mov_b32 s34, s20
	v_fma_f64 v[197:198], v[68:69], s[12:13], v[189:190]
	v_add_f64 v[150:151], v[72:73], v[150:151]
	v_fma_f64 v[199:200], v[181:182], s[12:13], -v[191:192]
	v_add_f64 v[154:155], v[195:196], v[154:155]
	v_add_f64 v[60:61], v[134:135], v[78:79]
	v_fma_f64 v[128:129], v[52:53], s[18:19], -v[128:129]
	v_add_f64 v[4:5], v[4:5], v[132:133]
	v_fma_f64 v[130:131], v[171:172], s[24:25], v[152:153]
	v_mul_f64 v[132:133], v[157:158], s[34:35]
	v_fma_f64 v[134:135], v[161:162], s[24:25], v[0:1]
	v_add_f64 v[6:7], v[40:41], v[6:7]
	v_mul_f64 v[152:153], v[56:57], s[4:5]
	v_add_f64 v[72:73], v[193:194], v[76:77]
	v_add_f64 v[78:79], v[197:198], v[150:151]
	;; [unrolled: 1-line block ×3, first 2 shown]
	v_fma_f64 v[148:149], v[68:69], s[12:13], -v[189:190]
	v_add_f64 v[4:5], v[128:129], v[4:5]
	v_fma_f64 v[128:129], v[175:176], s[22:23], v[187:188]
	v_mul_f64 v[150:151], v[82:83], s[6:7]
	v_fma_f64 v[154:155], v[163:164], s[18:19], v[132:133]
	v_add_f64 v[134:135], v[42:43], v[134:135]
	v_add_f64 v[6:7], v[130:131], v[6:7]
	v_mul_f64 v[187:188], v[165:166], s[34:35]
	v_fma_f64 v[189:190], v[167:168], s[24:25], -v[152:153]
	v_fma_f64 v[183:184], v[181:182], s[12:13], v[191:192]
	v_mul_f64 v[193:194], v[169:170], s[6:7]
	v_fma_f64 v[191:192], v[80:81], s[12:13], v[150:151]
	v_fma_f64 v[0:1], v[161:162], s[24:25], -v[0:1]
	v_add_f64 v[134:135], v[154:155], v[134:135]
	v_add_f64 v[6:7], v[128:129], v[6:7]
	v_fma_f64 v[128:129], v[171:172], s[18:19], -v[187:188]
	v_add_f64 v[189:190], v[40:41], v[189:190]
	v_fma_f64 v[130:131], v[179:180], s[18:19], v[185:186]
	v_mul_f64 v[185:186], v[144:145], s[28:29]
	v_fma_f64 v[132:133], v[163:164], s[18:19], -v[132:133]
	v_add_f64 v[0:1], v[42:43], v[0:1]
	v_add_f64 v[134:135], v[191:192], v[134:135]
	v_mul_f64 v[191:192], v[173:174], s[28:29]
	v_fma_f64 v[197:198], v[175:176], s[12:13], -v[193:194]
	v_add_f64 v[128:129], v[128:129], v[189:190]
	v_mul_f64 v[154:155], v[140:141], s[14:15]
	v_fma_f64 v[195:196], v[52:53], s[22:23], v[185:186]
	v_add_f64 v[6:7], v[130:131], v[6:7]
	v_add_f64 v[130:131], v[148:149], v[4:5]
	v_fma_f64 v[148:149], v[80:81], s[12:13], -v[150:151]
	v_add_f64 v[0:1], v[132:133], v[0:1]
	v_fma_f64 v[132:133], v[179:180], s[22:23], -v[191:192]
	v_add_f64 v[150:151], v[197:198], v[128:129]
	s_mov_b32 s7, 0xbfed1bb4
	v_fma_f64 v[189:190], v[68:69], s[16:17], v[154:155]
	v_add_f64 v[134:135], v[195:196], v[134:135]
	v_add_f64 v[128:129], v[183:184], v[6:7]
	v_fma_f64 v[6:7], v[52:53], s[22:23], -v[185:186]
	v_mul_f64 v[183:184], v[159:160], s[6:7]
	v_add_f64 v[0:1], v[148:149], v[0:1]
	v_add_f64 v[132:133], v[132:133], v[150:151]
	v_fma_f64 v[150:151], v[167:168], s[24:25], v[152:153]
	v_mul_f64 v[185:186], v[56:57], s[6:7]
	v_add_f64 v[134:135], v[189:190], v[134:135]
	v_fma_f64 v[152:153], v[68:69], s[16:17], -v[154:155]
	v_mul_f64 v[154:155], v[157:158], s[14:15]
	v_fma_f64 v[189:190], v[161:162], s[12:13], v[183:184]
	v_add_f64 v[0:1], v[6:7], v[0:1]
	v_fma_f64 v[6:7], v[171:172], s[18:19], v[187:188]
	v_add_f64 v[150:151], v[40:41], v[150:151]
	v_add_f64 v[2:3], v[42:43], v[2:3]
	v_add_f64 v[58:59], v[40:41], v[58:59]
	v_mul_f64 v[187:188], v[165:166], s[14:15]
	v_fma_f64 v[195:196], v[167:168], s[12:13], -v[185:186]
	v_mul_f64 v[197:198], v[82:83], s[34:35]
	v_fma_f64 v[199:200], v[163:164], s[16:17], v[154:155]
	v_add_f64 v[189:190], v[42:43], v[189:190]
	v_fma_f64 v[193:194], v[175:176], s[12:13], v[193:194]
	v_add_f64 v[6:7], v[6:7], v[150:151]
	v_add_f64 v[2:3], v[2:3], v[50:51]
	;; [unrolled: 1-line block ×3, first 2 shown]
	v_mul_f64 v[4:5], v[177:178], s[14:15]
	v_fma_f64 v[203:204], v[171:172], s[16:17], -v[187:188]
	v_add_f64 v[195:196], v[40:41], v[195:196]
	v_mul_f64 v[207:208], v[144:145], s[30:31]
	v_fma_f64 v[150:151], v[80:81], s[18:19], v[197:198]
	v_add_f64 v[189:190], v[199:200], v[189:190]
	v_fma_f64 v[191:192], v[179:180], s[22:23], v[191:192]
	v_add_f64 v[6:7], v[193:194], v[6:7]
	v_fma_f64 v[183:184], v[161:162], s[12:13], -v[183:184]
	v_add_f64 v[2:3], v[2:3], v[66:67]
	v_add_f64 v[50:51], v[50:51], v[142:143]
	v_fma_f64 v[148:149], v[181:182], s[16:17], -v[4:5]
	v_add_f64 v[195:196], v[203:204], v[195:196]
	v_fma_f64 v[203:204], v[52:53], s[24:25], v[207:208]
	v_add_f64 v[150:151], v[150:151], v[189:190]
	v_fma_f64 v[4:5], v[181:182], s[16:17], v[4:5]
	v_add_f64 v[6:7], v[191:192], v[6:7]
	v_fma_f64 v[154:155], v[163:164], s[16:17], -v[154:155]
	v_add_f64 v[183:184], v[42:43], v[183:184]
	v_add_f64 v[2:3], v[2:3], v[138:139]
	;; [unrolled: 1-line block ×3, first 2 shown]
	v_mul_f64 v[193:194], v[140:141], s[26:27]
	v_add_f64 v[203:204], v[203:204], v[150:151]
	v_add_f64 v[132:133], v[148:149], v[132:133]
	;; [unrolled: 1-line block ×3, first 2 shown]
	v_fma_f64 v[0:1], v[80:81], s[18:19], -v[197:198]
	v_fma_f64 v[185:186], v[167:168], s[12:13], v[185:186]
	v_add_f64 v[183:184], v[154:155], v[183:184]
	v_add_f64 v[148:149], v[4:5], v[6:7]
	v_mul_f64 v[6:7], v[159:160], s[28:29]
	v_mul_f64 v[56:57], v[56:57], s[28:29]
	v_add_f64 v[2:3], v[2:3], v[94:95]
	v_add_f64 v[50:51], v[50:51], v[90:91]
	v_mul_f64 v[201:202], v[169:170], s[34:35]
	v_fma_f64 v[191:192], v[68:69], s[22:23], v[193:194]
	v_fma_f64 v[4:5], v[52:53], s[24:25], -v[207:208]
	v_fma_f64 v[159:160], v[171:172], s[16:17], v[187:188]
	v_add_f64 v[185:186], v[40:41], v[185:186]
	v_add_f64 v[0:1], v[0:1], v[183:184]
	v_mul_f64 v[157:158], v[157:158], s[6:7]
	v_fma_f64 v[187:188], v[161:162], s[22:23], v[6:7]
	v_fma_f64 v[6:7], v[161:162], s[22:23], -v[6:7]
	v_mul_f64 v[138:139], v[165:166], s[6:7]
	v_fma_f64 v[90:91], v[167:168], s[22:23], v[56:57]
	v_fma_f64 v[56:57], v[167:168], s[22:23], -v[56:57]
	v_add_f64 v[2:3], v[2:3], v[92:93]
	v_add_f64 v[50:51], v[50:51], v[70:71]
	v_mul_f64 v[199:200], v[173:174], s[30:31]
	v_add_f64 v[154:155], v[191:192], v[203:204]
	v_fma_f64 v[191:192], v[175:176], s[18:19], v[201:202]
	v_add_f64 v[159:160], v[159:160], v[185:186]
	v_add_f64 v[0:1], v[4:5], v[0:1]
	v_mul_f64 v[4:5], v[82:83], s[4:5]
	v_fma_f64 v[58:59], v[163:164], s[12:13], v[157:158]
	v_add_f64 v[82:83], v[42:43], v[187:188]
	v_mul_f64 v[94:95], v[169:170], s[4:5]
	v_fma_f64 v[157:158], v[163:164], s[12:13], -v[157:158]
	v_add_f64 v[6:7], v[42:43], v[6:7]
	v_fma_f64 v[42:43], v[171:172], s[12:13], v[138:139]
	v_add_f64 v[70:71], v[40:41], v[90:91]
	v_fma_f64 v[90:91], v[171:172], s[12:13], -v[138:139]
	v_add_f64 v[40:41], v[40:41], v[56:57]
	v_add_f64 v[2:3], v[2:3], v[88:89]
	;; [unrolled: 1-line block ×3, first 2 shown]
	v_fma_f64 v[146:147], v[179:180], s[24:25], v[199:200]
	v_add_f64 v[159:160], v[191:192], v[159:160]
	v_mul_f64 v[144:145], v[144:145], s[14:15]
	v_fma_f64 v[66:67], v[80:81], s[24:25], v[4:5]
	v_add_f64 v[58:59], v[58:59], v[82:83]
	v_mul_f64 v[136:137], v[173:174], s[14:15]
	v_fma_f64 v[4:5], v[80:81], s[24:25], -v[4:5]
	v_add_f64 v[6:7], v[157:158], v[6:7]
	v_fma_f64 v[56:57], v[175:176], s[24:25], v[94:95]
	v_add_f64 v[42:43], v[42:43], v[70:71]
	v_fma_f64 v[209:210], v[175:176], s[18:19], -v[201:202]
	v_fma_f64 v[70:71], v[175:176], s[24:25], -v[94:95]
	v_add_f64 v[40:41], v[90:91], v[40:41]
	v_add_f64 v[2:3], v[2:3], v[54:55]
	;; [unrolled: 1-line block ×3, first 2 shown]
	v_mul_f64 v[140:141], v[140:141], s[20:21]
	v_add_f64 v[142:143], v[146:147], v[159:160]
	v_fma_f64 v[159:160], v[52:53], s[16:17], v[144:145]
	v_add_f64 v[58:59], v[66:67], v[58:59]
	v_mul_f64 v[66:67], v[177:178], s[20:21]
	v_fma_f64 v[52:53], v[52:53], s[16:17], -v[144:145]
	v_add_f64 v[4:5], v[4:5], v[6:7]
	v_fma_f64 v[6:7], v[179:180], s[16:17], v[136:137]
	v_add_f64 v[42:43], v[56:57], v[42:43]
	v_mul_f64 v[189:190], v[177:178], s[26:27]
	v_fma_f64 v[211:212], v[179:180], s[24:25], -v[199:200]
	v_add_f64 v[195:196], v[209:210], v[195:196]
	v_fma_f64 v[54:55], v[179:180], s[16:17], -v[136:137]
	v_add_f64 v[40:41], v[70:71], v[40:41]
	v_add_f64 v[2:3], v[2:3], v[48:49]
	;; [unrolled: 1-line block ×3, first 2 shown]
	v_fma_f64 v[183:184], v[68:69], s[22:23], -v[193:194]
	v_fma_f64 v[146:147], v[68:69], s[18:19], v[140:141]
	v_fma_f64 v[56:57], v[68:69], s[18:19], -v[140:141]
	v_add_f64 v[4:5], v[52:53], v[4:5]
	v_fma_f64 v[68:69], v[181:182], s[18:19], v[66:67]
	v_add_f64 v[6:7], v[6:7], v[42:43]
	v_fma_f64 v[82:83], v[181:182], s[22:23], v[189:190]
	v_fma_f64 v[209:210], v[181:182], s[22:23], -v[189:190]
	v_add_f64 v[195:196], v[211:212], v[195:196]
	v_add_f64 v[58:59], v[159:160], v[58:59]
	v_fma_f64 v[64:65], v[181:182], s[18:19], -v[66:67]
	v_add_f64 v[54:55], v[54:55], v[40:41]
	v_add_f64 v[52:53], v[2:3], v[46:47]
	;; [unrolled: 1-line block ×7, first 2 shown]
	v_mul_u32_u24_e32 v0, 0x160, v13
	v_or_b32_e32 v0, v0, v12
	v_lshlrev_b32_e32 v0, 4, v0
	v_add_f64 v[152:153], v[209:210], v[195:196]
	v_add_f64 v[56:57], v[146:147], v[58:59]
	;; [unrolled: 1-line block ×3, first 2 shown]
	ds_write_b128 v0, v[50:53]
	ds_write_b128 v0, v[46:49] offset:512
	ds_write_b128 v0, v[40:43] offset:1024
	;; [unrolled: 1-line block ×10, first 2 shown]
.LBB0_9:
	s_or_b64 exec, exec, s[0:1]
	s_waitcnt lgkmcnt(0)
	s_barrier
	ds_read_b128 v[42:45], v205
	ds_read_b128 v[46:49], v205 offset:2816
	ds_read_b128 v[50:53], v205 offset:5632
	ds_read_b128 v[54:57], v205 offset:8448
	ds_read_b128 v[58:61], v205 offset:11264
	ds_read_b128 v[62:65], v205 offset:14080
	ds_read_b128 v[66:69], v205 offset:16896
	ds_read_b128 v[70:73], v205 offset:19712
	s_waitcnt lgkmcnt(5)
	v_mul_f64 v[0:1], v[106:107], v[52:53]
	v_mul_f64 v[2:3], v[106:107], v[50:51]
	s_waitcnt lgkmcnt(3)
	v_mul_f64 v[4:5], v[114:115], v[60:61]
	s_waitcnt lgkmcnt(1)
	v_mul_f64 v[82:83], v[110:111], v[68:69]
	ds_read_b128 v[74:77], v205 offset:22528
	ds_read_b128 v[78:81], v205 offset:25344
	v_mul_f64 v[6:7], v[114:115], v[58:59]
	v_mul_f64 v[84:85], v[110:111], v[66:67]
	v_mad_u64_u32 v[40:41], s[0:1], s10, v32, 0
	v_fma_f64 v[0:1], v[104:105], v[50:51], v[0:1]
	s_waitcnt lgkmcnt(1)
	v_mul_f64 v[50:51], v[98:99], v[76:77]
	v_mul_f64 v[86:87], v[98:99], v[74:75]
	v_fma_f64 v[2:3], v[104:105], v[52:53], -v[2:3]
	v_fma_f64 v[4:5], v[112:113], v[58:59], v[4:5]
	v_fma_f64 v[52:53], v[108:109], v[66:67], v[82:83]
	v_fma_f64 v[6:7], v[112:113], v[60:61], -v[6:7]
	v_fma_f64 v[60:61], v[108:109], v[68:69], -v[84:85]
	v_mul_f64 v[58:59], v[118:119], v[56:57]
	v_fma_f64 v[66:67], v[96:97], v[74:75], v[50:51]
	v_fma_f64 v[68:69], v[96:97], v[76:77], -v[86:87]
	v_mul_f64 v[50:51], v[118:119], v[54:55]
	v_mul_f64 v[74:75], v[126:127], v[64:65]
	v_add_f64 v[84:85], v[4:5], v[52:53]
	v_add_f64 v[76:77], v[42:43], v[0:1]
	v_mul_f64 v[82:83], v[126:127], v[62:63]
	v_fma_f64 v[86:87], v[116:117], v[54:55], v[58:59]
	v_mul_f64 v[54:55], v[122:123], v[72:73]
	v_mul_f64 v[58:59], v[122:123], v[70:71]
	v_fma_f64 v[88:89], v[116:117], v[56:57], -v[50:51]
	v_fma_f64 v[74:75], v[124:125], v[62:63], v[74:75]
	v_fma_f64 v[56:57], v[84:85], -0.5, v[42:43]
	v_add_f64 v[62:63], v[2:3], -v[68:69]
	v_add_f64 v[92:93], v[0:1], v[66:67]
	s_mov_b32 s0, 0x134454ff
	s_mov_b32 s1, 0xbfee6f0e
	;; [unrolled: 1-line block ×4, first 2 shown]
	v_add_f64 v[50:51], v[76:77], v[4:5]
	v_fma_f64 v[76:77], v[124:125], v[64:65], -v[82:83]
	v_fma_f64 v[70:71], v[120:121], v[70:71], v[54:55]
	v_fma_f64 v[72:73], v[120:121], v[72:73], -v[58:59]
	s_waitcnt lgkmcnt(0)
	v_mul_f64 v[54:55], v[102:103], v[80:81]
	v_mul_f64 v[58:59], v[102:103], v[78:79]
	v_fma_f64 v[64:65], v[62:63], s[0:1], v[56:57]
	v_add_f64 v[82:83], v[6:7], -v[60:61]
	v_add_f64 v[84:85], v[0:1], -v[4:5]
	;; [unrolled: 1-line block ×3, first 2 shown]
	v_fma_f64 v[42:43], v[92:93], -0.5, v[42:43]
	v_fma_f64 v[56:57], v[62:63], s[14:15], v[56:57]
	s_mov_b32 s6, 0x4755a5e
	s_mov_b32 s7, 0xbfe2cf23
	;; [unrolled: 1-line block ×4, first 2 shown]
	v_add_f64 v[50:51], v[50:51], v[52:53]
	v_fma_f64 v[78:79], v[100:101], v[78:79], v[54:55]
	v_fma_f64 v[80:81], v[100:101], v[80:81], -v[58:59]
	v_fma_f64 v[54:55], v[82:83], s[6:7], v[64:65]
	v_add_f64 v[58:59], v[84:85], v[90:91]
	v_add_f64 v[64:65], v[44:45], v[2:3]
	v_add_f64 v[84:85], v[6:7], v[60:61]
	v_fma_f64 v[90:91], v[82:83], s[14:15], v[42:43]
	v_add_f64 v[92:93], v[4:5], -v[0:1]
	v_add_f64 v[94:95], v[52:53], -v[66:67]
	v_fma_f64 v[56:57], v[82:83], s[12:13], v[56:57]
	v_fma_f64 v[82:83], v[82:83], s[0:1], v[42:43]
	s_mov_b32 s4, 0x372fe950
	s_mov_b32 s5, 0x3fd3c6ef
	v_add_f64 v[50:51], v[50:51], v[66:67]
	v_add_f64 v[64:65], v[64:65], v[6:7]
	v_fma_f64 v[84:85], v[84:85], -0.5, v[44:45]
	v_add_f64 v[0:1], v[0:1], -v[66:67]
	v_fma_f64 v[66:67], v[62:63], s[6:7], v[90:91]
	v_add_f64 v[90:91], v[92:93], v[94:95]
	v_fma_f64 v[42:43], v[58:59], s[4:5], v[54:55]
	v_fma_f64 v[54:55], v[58:59], s[4:5], v[56:57]
	;; [unrolled: 1-line block ×3, first 2 shown]
	v_add_f64 v[82:83], v[2:3], v[68:69]
	v_add_f64 v[64:65], v[64:65], v[60:61]
	v_fma_f64 v[92:93], v[0:1], s[14:15], v[84:85]
	v_add_f64 v[4:5], v[4:5], -v[52:53]
	v_fma_f64 v[58:59], v[90:91], s[4:5], v[66:67]
	v_add_f64 v[66:67], v[74:75], v[70:71]
	v_add_f64 v[94:95], v[2:3], -v[6:7]
	v_fma_f64 v[62:63], v[90:91], s[4:5], v[56:57]
	v_fma_f64 v[44:45], v[82:83], -0.5, v[44:45]
	v_add_f64 v[52:53], v[64:65], v[68:69]
	v_add_f64 v[64:65], v[46:47], v[86:87]
	v_fma_f64 v[56:57], v[4:5], s[12:13], v[92:93]
	v_add_f64 v[90:91], v[88:89], -v[80:81]
	v_fma_f64 v[82:83], v[66:67], -0.5, v[46:47]
	v_add_f64 v[2:3], v[6:7], -v[2:3]
	v_add_f64 v[6:7], v[60:61], -v[68:69]
	v_fma_f64 v[92:93], v[4:5], s[0:1], v[44:45]
	v_fma_f64 v[44:45], v[4:5], s[14:15], v[44:45]
	v_add_f64 v[96:97], v[68:69], -v[60:61]
	v_fma_f64 v[84:85], v[0:1], s[0:1], v[84:85]
	v_add_f64 v[60:61], v[64:65], v[74:75]
	v_fma_f64 v[64:65], v[90:91], s[0:1], v[82:83]
	v_add_f64 v[68:69], v[76:77], -v[72:73]
	v_add_f64 v[2:3], v[2:3], v[6:7]
	v_fma_f64 v[92:93], v[0:1], s[12:13], v[92:93]
	v_fma_f64 v[0:1], v[0:1], s[6:7], v[44:45]
	v_add_f64 v[66:67], v[94:95], v[96:97]
	v_add_f64 v[94:95], v[86:87], -v[74:75]
	v_add_f64 v[96:97], v[78:79], -v[70:71]
	v_fma_f64 v[4:5], v[4:5], s[6:7], v[84:85]
	v_add_f64 v[84:85], v[86:87], v[78:79]
	v_add_f64 v[6:7], v[60:61], v[70:71]
	v_fma_f64 v[98:99], v[68:69], s[6:7], v[64:65]
	v_fma_f64 v[64:65], v[2:3], s[4:5], v[0:1]
	v_add_f64 v[0:1], v[76:77], v[72:73]
	v_fma_f64 v[60:61], v[2:3], s[4:5], v[92:93]
	v_fma_f64 v[2:3], v[90:91], s[14:15], v[82:83]
	v_add_f64 v[82:83], v[88:89], v[80:81]
	v_add_f64 v[94:95], v[94:95], v[96:97]
	;; [unrolled: 1-line block ×3, first 2 shown]
	v_fma_f64 v[84:85], v[84:85], -0.5, v[46:47]
	v_add_f64 v[46:47], v[6:7], v[78:79]
	v_add_f64 v[92:93], v[70:71], -v[78:79]
	v_fma_f64 v[0:1], v[0:1], -0.5, v[48:49]
	v_add_f64 v[78:79], v[86:87], -v[78:79]
	v_add_f64 v[6:7], v[74:75], -v[86:87]
	;; [unrolled: 1-line block ×3, first 2 shown]
	v_fma_f64 v[48:49], v[82:83], -0.5, v[48:49]
	v_add_f64 v[74:75], v[96:97], v[76:77]
	v_fma_f64 v[44:45], v[66:67], s[4:5], v[56:57]
	v_fma_f64 v[56:57], v[66:67], s[4:5], v[4:5]
	v_fma_f64 v[4:5], v[68:69], s[14:15], v[84:85]
	v_fma_f64 v[2:3], v[68:69], s[12:13], v[2:3]
	v_fma_f64 v[68:69], v[68:69], s[0:1], v[84:85]
	v_fma_f64 v[82:83], v[78:79], s[14:15], v[0:1]
	v_add_f64 v[84:85], v[88:89], -v[76:77]
	v_add_f64 v[86:87], v[80:81], -v[72:73]
	v_add_f64 v[6:7], v[6:7], v[92:93]
	v_fma_f64 v[92:93], v[70:71], s[0:1], v[48:49]
	v_add_f64 v[76:77], v[76:77], -v[88:89]
	v_add_f64 v[88:89], v[72:73], -v[80:81]
	v_fma_f64 v[0:1], v[78:79], s[0:1], v[0:1]
	v_fma_f64 v[48:49], v[70:71], s[14:15], v[48:49]
	v_add_f64 v[72:73], v[74:75], v[72:73]
	v_fma_f64 v[68:69], v[90:91], s[12:13], v[68:69]
	v_fma_f64 v[82:83], v[70:71], s[12:13], v[82:83]
	v_add_f64 v[84:85], v[84:85], v[86:87]
	;; [unrolled: 3-line block ×4, first 2 shown]
	v_fma_f64 v[66:67], v[94:95], s[4:5], v[98:99]
	v_fma_f64 v[78:79], v[6:7], s[4:5], v[68:69]
	v_fma_f64 v[68:69], v[84:85], s[4:5], v[82:83]
	v_fma_f64 v[74:75], v[6:7], s[4:5], v[4:5]
	v_fma_f64 v[76:77], v[88:89], s[4:5], v[86:87]
	v_fma_f64 v[70:71], v[94:95], s[4:5], v[2:3]
	v_fma_f64 v[72:73], v[84:85], s[4:5], v[0:1]
	v_fma_f64 v[80:81], v[88:89], s[4:5], v[90:91]
	ds_write_b128 v205, v[50:53]
	ds_write_b128 v205, v[42:45] offset:5632
	ds_write_b128 v205, v[58:61] offset:11264
	ds_write_b128 v205, v[62:65] offset:16896
	ds_write_b128 v205, v[54:57] offset:22528
	ds_write_b128 v205, v[46:49] offset:2816
	ds_write_b128 v205, v[66:69] offset:8448
	ds_write_b128 v205, v[74:77] offset:14080
	ds_write_b128 v205, v[78:81] offset:19712
	ds_write_b128 v205, v[70:73] offset:25344
	s_waitcnt lgkmcnt(0)
	s_barrier
	ds_read_b128 v[42:45], v205
	ds_read_b128 v[46:49], v205 offset:2816
	v_mov_b32_e32 v0, v41
	ds_read_b128 v[36:39], v205 offset:14080
	ds_read_b128 v[50:53], v205 offset:11264
	s_waitcnt lgkmcnt(3)
	v_mul_f64 v[1:2], v[16:17], v[44:45]
	v_mad_u64_u32 v[3:4], s[0:1], s11, v32, v[0:1]
	v_mul_f64 v[4:5], v[16:17], v[42:43]
	v_fma_f64 v[0:1], v[14:15], v[42:43], v[1:2]
	v_mov_b32_e32 v41, v3
	v_mad_u64_u32 v[2:3], s[0:1], s8, v233, 0
	s_mov_b32 s0, 0x29e4129e
	s_mov_b32 s1, 0x3f429e41
	v_fma_f64 v[4:5], v[14:15], v[44:45], -v[4:5]
	v_mul_f64 v[42:43], v[0:1], s[0:1]
	s_waitcnt lgkmcnt(1)
	v_mul_f64 v[0:1], v[215:216], v[38:39]
	v_mad_u64_u32 v[6:7], s[4:5], s9, v233, v[3:4]
	v_mul_f64 v[44:45], v[4:5], s[0:1]
	v_lshlrev_b64 v[4:5], 4, v[40:41]
	v_mov_b32_e32 v3, v6
	v_mul_f64 v[6:7], v[215:216], v[36:37]
	v_mov_b32_e32 v40, s3
	v_add_co_u32_e32 v41, vcc, s2, v4
	v_addc_co_u32_e32 v40, vcc, v40, v5, vcc
	v_fma_f64 v[0:1], v[213:214], v[36:37], v[0:1]
	v_lshlrev_b64 v[2:3], 4, v[2:3]
	v_fma_f64 v[4:5], v[213:214], v[38:39], -v[6:7]
	v_mul_f64 v[36:37], v[219:220], v[48:49]
	v_mul_f64 v[38:39], v[219:220], v[46:47]
	v_add_co_u32_e32 v6, vcc, v41, v2
	v_addc_co_u32_e32 v7, vcc, v40, v3, vcc
	v_mul_f64 v[0:1], v[0:1], s[0:1]
	v_mul_f64 v[2:3], v[4:5], s[0:1]
	s_mul_i32 s2, s9, 0x3700
	s_mul_hi_u32 s3, s8, 0x3700
	s_add_i32 s2, s3, s2
	s_mul_i32 s3, s8, 0x3700
	v_fma_f64 v[4:5], v[217:218], v[46:47], v[36:37]
	v_fma_f64 v[36:37], v[217:218], v[48:49], -v[38:39]
	global_store_dwordx4 v[6:7], v[42:45], off
	v_mov_b32_e32 v40, s2
	v_add_co_u32_e32 v44, vcc, s3, v6
	v_addc_co_u32_e32 v45, vcc, v7, v40, vcc
	global_store_dwordx4 v[44:45], v[0:3], off
	ds_read_b128 v[0:3], v205 offset:16896
	v_mul_f64 v[6:7], v[36:37], s[0:1]
	ds_read_b128 v[36:39], v205 offset:19712
	ds_read_b128 v[40:43], v205 offset:5632
	v_mul_f64 v[4:5], v[4:5], s[0:1]
	s_waitcnt lgkmcnt(2)
	v_mul_f64 v[46:47], v[10:11], v[2:3]
	v_mul_f64 v[18:19], v[10:11], v[0:1]
	s_mul_hi_u32 s5, s8, 0xffffd400
	s_mul_i32 s4, s9, 0xffffd400
	s_sub_i32 s5, s5, s8
	s_add_i32 s4, s5, s4
	s_mul_i32 s5, s8, 0xffffd400
	v_mov_b32_e32 v48, s4
	v_fma_f64 v[46:47], v[8:9], v[0:1], v[46:47]
	v_fma_f64 v[16:17], v[8:9], v[2:3], -v[18:19]
	ds_read_b128 v[0:3], v205 offset:8448
	s_waitcnt lgkmcnt(1)
	v_mul_f64 v[18:19], v[223:224], v[42:43]
	v_mul_f64 v[10:11], v[223:224], v[40:41]
	v_add_co_u32_e32 v44, vcc, s5, v44
	v_addc_co_u32_e32 v45, vcc, v45, v48, vcc
	global_store_dwordx4 v[44:45], v[4:7], off
	v_mul_f64 v[14:15], v[227:228], v[36:37]
	v_mul_f64 v[4:5], v[46:47], s[0:1]
	;; [unrolled: 1-line block ×3, first 2 shown]
	v_fma_f64 v[16:17], v[221:222], v[40:41], v[18:19]
	v_fma_f64 v[8:9], v[221:222], v[42:43], -v[10:11]
	v_mul_f64 v[10:11], v[227:228], v[38:39]
	v_mov_b32_e32 v46, s2
	v_add_co_u32_e32 v18, vcc, s3, v44
	v_addc_co_u32_e32 v19, vcc, v45, v46, vcc
	global_store_dwordx4 v[18:19], v[4:7], off
	s_waitcnt lgkmcnt(0)
	v_mul_f64 v[12:13], v[22:23], v[2:3]
	v_mul_f64 v[4:5], v[16:17], s[0:1]
	;; [unrolled: 1-line block ×3, first 2 shown]
	v_fma_f64 v[8:9], v[225:226], v[36:37], v[10:11]
	v_fma_f64 v[10:11], v[225:226], v[38:39], -v[14:15]
	v_mul_f64 v[14:15], v[22:23], v[0:1]
	v_mov_b32_e32 v17, s4
	v_add_co_u32_e32 v16, vcc, s5, v18
	v_addc_co_u32_e32 v17, vcc, v19, v17, vcc
	global_store_dwordx4 v[16:17], v[4:7], off
	v_fma_f64 v[12:13], v[20:21], v[0:1], v[12:13]
	v_mul_f64 v[4:5], v[8:9], s[0:1]
	v_mul_f64 v[6:7], v[10:11], s[0:1]
	ds_read_b128 v[8:11], v205 offset:22528
	v_fma_f64 v[14:15], v[20:21], v[2:3], -v[14:15]
	ds_read_b128 v[0:3], v205 offset:25344
	v_mov_b32_e32 v34, s2
	v_add_co_u32_e32 v16, vcc, s3, v16
	s_waitcnt lgkmcnt(1)
	v_mul_f64 v[18:19], v[231:232], v[10:11]
	v_mul_f64 v[22:23], v[231:232], v[8:9]
	v_addc_co_u32_e32 v17, vcc, v17, v34, vcc
	global_store_dwordx4 v[16:17], v[4:7], off
	s_waitcnt lgkmcnt(0)
	v_mul_f64 v[20:21], v[30:31], v[0:1]
	v_mul_f64 v[4:5], v[12:13], s[0:1]
	v_mov_b32_e32 v13, s4
	v_add_co_u32_e32 v12, vcc, s5, v16
	v_mul_f64 v[6:7], v[14:15], s[0:1]
	v_fma_f64 v[8:9], v[229:230], v[8:9], v[18:19]
	v_fma_f64 v[10:11], v[229:230], v[10:11], -v[22:23]
	v_addc_co_u32_e32 v13, vcc, v17, v13, vcc
	v_mul_f64 v[14:15], v[26:27], v[52:53]
	v_mul_f64 v[16:17], v[26:27], v[50:51]
	;; [unrolled: 1-line block ×3, first 2 shown]
	global_store_dwordx4 v[12:13], v[4:7], off
	v_mov_b32_e32 v22, s2
	v_mul_f64 v[4:5], v[8:9], s[0:1]
	v_mul_f64 v[6:7], v[10:11], s[0:1]
	v_add_co_u32_e32 v12, vcc, s3, v12
	v_fma_f64 v[8:9], v[24:25], v[50:51], v[14:15]
	v_fma_f64 v[10:11], v[24:25], v[52:53], -v[16:17]
	v_fma_f64 v[14:15], v[28:29], v[0:1], v[18:19]
	v_fma_f64 v[16:17], v[28:29], v[2:3], -v[20:21]
	v_addc_co_u32_e32 v13, vcc, v13, v22, vcc
	global_store_dwordx4 v[12:13], v[4:7], off
	v_mul_f64 v[0:1], v[8:9], s[0:1]
	v_mul_f64 v[2:3], v[10:11], s[0:1]
	;; [unrolled: 1-line block ×4, first 2 shown]
	v_mov_b32_e32 v9, s4
	v_add_co_u32_e32 v8, vcc, s5, v12
	v_addc_co_u32_e32 v9, vcc, v13, v9, vcc
	global_store_dwordx4 v[8:9], v[0:3], off
	s_nop 0
	v_mov_b32_e32 v1, s2
	v_add_co_u32_e32 v0, vcc, s3, v8
	v_addc_co_u32_e32 v1, vcc, v9, v1, vcc
	global_store_dwordx4 v[0:1], v[4:7], off
.LBB0_10:
	s_endpgm
	.section	.rodata,"a",@progbits
	.p2align	6, 0x0
	.amdhsa_kernel bluestein_single_fwd_len1760_dim1_dp_op_CI_CI
		.amdhsa_group_segment_fixed_size 28160
		.amdhsa_private_segment_fixed_size 176
		.amdhsa_kernarg_size 104
		.amdhsa_user_sgpr_count 6
		.amdhsa_user_sgpr_private_segment_buffer 1
		.amdhsa_user_sgpr_dispatch_ptr 0
		.amdhsa_user_sgpr_queue_ptr 0
		.amdhsa_user_sgpr_kernarg_segment_ptr 1
		.amdhsa_user_sgpr_dispatch_id 0
		.amdhsa_user_sgpr_flat_scratch_init 0
		.amdhsa_user_sgpr_private_segment_size 0
		.amdhsa_uses_dynamic_stack 0
		.amdhsa_system_sgpr_private_segment_wavefront_offset 1
		.amdhsa_system_sgpr_workgroup_id_x 1
		.amdhsa_system_sgpr_workgroup_id_y 0
		.amdhsa_system_sgpr_workgroup_id_z 0
		.amdhsa_system_sgpr_workgroup_info 0
		.amdhsa_system_vgpr_workitem_id 0
		.amdhsa_next_free_vgpr 256
		.amdhsa_next_free_sgpr 48
		.amdhsa_reserve_vcc 1
		.amdhsa_reserve_flat_scratch 0
		.amdhsa_float_round_mode_32 0
		.amdhsa_float_round_mode_16_64 0
		.amdhsa_float_denorm_mode_32 3
		.amdhsa_float_denorm_mode_16_64 3
		.amdhsa_dx10_clamp 1
		.amdhsa_ieee_mode 1
		.amdhsa_fp16_overflow 0
		.amdhsa_exception_fp_ieee_invalid_op 0
		.amdhsa_exception_fp_denorm_src 0
		.amdhsa_exception_fp_ieee_div_zero 0
		.amdhsa_exception_fp_ieee_overflow 0
		.amdhsa_exception_fp_ieee_underflow 0
		.amdhsa_exception_fp_ieee_inexact 0
		.amdhsa_exception_int_div_zero 0
	.end_amdhsa_kernel
	.text
.Lfunc_end0:
	.size	bluestein_single_fwd_len1760_dim1_dp_op_CI_CI, .Lfunc_end0-bluestein_single_fwd_len1760_dim1_dp_op_CI_CI
                                        ; -- End function
	.section	.AMDGPU.csdata,"",@progbits
; Kernel info:
; codeLenInByte = 18636
; NumSgprs: 52
; NumVgprs: 256
; ScratchSize: 176
; MemoryBound: 0
; FloatMode: 240
; IeeeMode: 1
; LDSByteSize: 28160 bytes/workgroup (compile time only)
; SGPRBlocks: 6
; VGPRBlocks: 63
; NumSGPRsForWavesPerEU: 52
; NumVGPRsForWavesPerEU: 256
; Occupancy: 1
; WaveLimiterHint : 1
; COMPUTE_PGM_RSRC2:SCRATCH_EN: 1
; COMPUTE_PGM_RSRC2:USER_SGPR: 6
; COMPUTE_PGM_RSRC2:TRAP_HANDLER: 0
; COMPUTE_PGM_RSRC2:TGID_X_EN: 1
; COMPUTE_PGM_RSRC2:TGID_Y_EN: 0
; COMPUTE_PGM_RSRC2:TGID_Z_EN: 0
; COMPUTE_PGM_RSRC2:TIDIG_COMP_CNT: 0
	.type	__hip_cuid_ac46beff1b285308,@object ; @__hip_cuid_ac46beff1b285308
	.section	.bss,"aw",@nobits
	.globl	__hip_cuid_ac46beff1b285308
__hip_cuid_ac46beff1b285308:
	.byte	0                               ; 0x0
	.size	__hip_cuid_ac46beff1b285308, 1

	.ident	"AMD clang version 19.0.0git (https://github.com/RadeonOpenCompute/llvm-project roc-6.4.0 25133 c7fe45cf4b819c5991fe208aaa96edf142730f1d)"
	.section	".note.GNU-stack","",@progbits
	.addrsig
	.addrsig_sym __hip_cuid_ac46beff1b285308
	.amdgpu_metadata
---
amdhsa.kernels:
  - .args:
      - .actual_access:  read_only
        .address_space:  global
        .offset:         0
        .size:           8
        .value_kind:     global_buffer
      - .actual_access:  read_only
        .address_space:  global
        .offset:         8
        .size:           8
        .value_kind:     global_buffer
      - .actual_access:  read_only
        .address_space:  global
        .offset:         16
        .size:           8
        .value_kind:     global_buffer
      - .actual_access:  read_only
        .address_space:  global
        .offset:         24
        .size:           8
        .value_kind:     global_buffer
      - .actual_access:  read_only
        .address_space:  global
        .offset:         32
        .size:           8
        .value_kind:     global_buffer
      - .offset:         40
        .size:           8
        .value_kind:     by_value
      - .address_space:  global
        .offset:         48
        .size:           8
        .value_kind:     global_buffer
      - .address_space:  global
        .offset:         56
        .size:           8
        .value_kind:     global_buffer
      - .address_space:  global
        .offset:         64
        .size:           8
        .value_kind:     global_buffer
      - .address_space:  global
        .offset:         72
        .size:           8
        .value_kind:     global_buffer
      - .offset:         80
        .size:           4
        .value_kind:     by_value
      - .address_space:  global
        .offset:         88
        .size:           8
        .value_kind:     global_buffer
      - .address_space:  global
        .offset:         96
        .size:           8
        .value_kind:     global_buffer
    .group_segment_fixed_size: 28160
    .kernarg_segment_align: 8
    .kernarg_segment_size: 104
    .language:       OpenCL C
    .language_version:
      - 2
      - 0
    .max_flat_workgroup_size: 176
    .name:           bluestein_single_fwd_len1760_dim1_dp_op_CI_CI
    .private_segment_fixed_size: 176
    .sgpr_count:     52
    .sgpr_spill_count: 0
    .symbol:         bluestein_single_fwd_len1760_dim1_dp_op_CI_CI.kd
    .uniform_work_group_size: 1
    .uses_dynamic_stack: false
    .vgpr_count:     256
    .vgpr_spill_count: 43
    .wavefront_size: 64
amdhsa.target:   amdgcn-amd-amdhsa--gfx906
amdhsa.version:
  - 1
  - 2
...

	.end_amdgpu_metadata
